;; amdgpu-corpus repo=ROCm/rocFFT kind=compiled arch=gfx950 opt=O3
	.text
	.amdgcn_target "amdgcn-amd-amdhsa--gfx950"
	.amdhsa_code_object_version 6
	.protected	bluestein_single_back_len840_dim1_dp_op_CI_CI ; -- Begin function bluestein_single_back_len840_dim1_dp_op_CI_CI
	.globl	bluestein_single_back_len840_dim1_dp_op_CI_CI
	.p2align	8
	.type	bluestein_single_back_len840_dim1_dp_op_CI_CI,@function
bluestein_single_back_len840_dim1_dp_op_CI_CI: ; @bluestein_single_back_len840_dim1_dp_op_CI_CI
; %bb.0:
	s_load_dwordx4 s[8:11], s[0:1], 0x28
	v_mul_u32_u24_e32 v1, 0x493, v0
	v_mov_b32_e32 v23, 0
	v_add_u32_sdwa v24, s2, v1 dst_sel:DWORD dst_unused:UNUSED_PAD src0_sel:DWORD src1_sel:WORD_1
	v_mov_b32_e32 v25, v23
	s_waitcnt lgkmcnt(0)
	v_cmp_gt_u64_e32 vcc, s[8:9], v[24:25]
	s_and_saveexec_b64 s[2:3], vcc
	s_cbranch_execz .LBB0_39
; %bb.1:
	s_load_dwordx4 s[4:7], s[0:1], 0x18
	s_load_dwordx2 s[14:15], s[0:1], 0x0
	v_mov_b32_e32 v2, s10
	v_mov_b32_e32 v3, s11
	;; [unrolled: 1-line block ×3, first 2 shown]
	s_waitcnt lgkmcnt(0)
	s_load_dwordx4 s[8:11], s[4:5], 0x0
	v_mul_lo_u16_sdwa v1, v1, v4 dst_sel:DWORD dst_unused:UNUSED_PAD src0_sel:WORD_1 src1_sel:DWORD
	v_sub_u16_e32 v22, v0, v1
	v_lshlrev_b32_e32 v20, 4, v22
	v_mov_b32_e32 v21, v23
	s_waitcnt lgkmcnt(0)
	v_mad_u64_u32 v[0:1], s[2:3], s10, v24, 0
	v_mov_b32_e32 v4, v1
	v_mad_u64_u32 v[4:5], s[2:3], s11, v24, v[4:5]
	v_mov_b32_e32 v1, v4
	v_mad_u64_u32 v[4:5], s[2:3], s8, v22, 0
	v_mov_b32_e32 v6, v5
	v_mad_u64_u32 v[6:7], s[2:3], s9, v22, v[6:7]
	s_mul_i32 s2, s9, 0x1a4
	s_mul_hi_u32 s3, s8, 0x1a4
	v_mov_b32_e32 v5, v6
	v_lshl_add_u64 v[0:1], v[0:1], 4, v[2:3]
	s_add_i32 s3, s3, s2
	s_mul_i32 s2, s8, 0x1a4
	v_lshl_add_u64 v[0:1], v[4:5], 4, v[0:1]
	v_lshl_add_u64 v[8:9], s[14:15], 0, v[20:21]
	s_lshl_b64 s[4:5], s[2:3], 4
	s_movk_i32 s10, 0x1000
	v_lshl_add_u64 v[2:3], v[0:1], 0, s[4:5]
	global_load_dwordx4 v[60:63], v[0:1], off
	global_load_dwordx4 v[56:59], v[2:3], off
	v_add_co_u32_e32 v0, vcc, s10, v8
	s_mul_hi_u32 s10, s8, 0xfffffe94
	s_nop 0
	v_addc_co_u32_e32 v1, vcc, 0, v9, vcc
	s_mulk_i32 s9, 0xfe94
	s_sub_i32 s10, s10, s8
	global_load_dwordx4 v[28:31], v[0:1], off offset:2624
	global_load_dwordx4 v[52:55], v20, s[14:15]
	s_add_i32 s17, s10, s9
	s_mul_i32 s16, s8, 0xfffffe94
	s_lshl_b64 s[8:9], s[16:17], 4
	v_lshl_add_u64 v[2:3], v[2:3], 0, s[8:9]
	global_load_dwordx4 v[32:35], v20, s[14:15] offset:896
	global_load_dwordx4 v[64:67], v[2:3], off
	v_lshl_add_u64 v[2:3], v[2:3], 0, s[4:5]
	global_load_dwordx4 v[68:71], v[2:3], off
	global_load_dwordx4 v[36:39], v[0:1], off offset:3520
	v_lshl_add_u64 v[2:3], v[2:3], 0, s[8:9]
	s_movk_i32 s10, 0x2000
	global_load_dwordx4 v[72:75], v[2:3], off
	global_load_dwordx4 v[40:43], v20, s[14:15] offset:1792
	v_add_co_u32_e32 v18, vcc, s10, v8
	v_lshl_add_u64 v[6:7], v[2:3], 0, s[4:5]
	s_nop 0
	v_addc_co_u32_e32 v19, vcc, 0, v9, vcc
	global_load_dwordx4 v[2:5], v[6:7], off
	global_load_dwordx4 v[44:47], v[18:19], off offset:320
	v_accvgpr_write_b32 a0, v8
	v_lshl_add_u64 v[10:11], v[6:7], 0, s[8:9]
	v_accvgpr_write_b32 a1, v9
	global_load_dwordx4 v[6:9], v[10:11], off
	global_load_dwordx4 v[48:51], v20, s[14:15] offset:2688
	v_lshl_add_u64 v[14:15], v[10:11], 0, s[4:5]
	global_load_dwordx4 v[10:13], v[14:15], off
	global_load_dwordx4 v[100:103], v[18:19], off offset:1216
	v_lshl_add_u64 v[26:27], v[14:15], 0, s[8:9]
	global_load_dwordx4 v[14:17], v[26:27], off
	global_load_dwordx4 v[104:107], v20, s[14:15] offset:3584
	v_lshl_add_u64 v[26:27], v[26:27], 0, s[4:5]
	global_load_dwordx4 v[76:79], v[26:27], off
	global_load_dwordx4 v[108:111], v[18:19], off offset:2112
	v_lshl_add_u64 v[26:27], v[26:27], 0, s[8:9]
	global_load_dwordx4 v[80:83], v[26:27], off
	global_load_dwordx4 v[116:119], v[0:1], off offset:384
	;; [unrolled: 3-line block ×4, first 2 shown]
	v_lshl_add_u64 v[0:1], v[26:27], 0, s[4:5]
	global_load_dwordx4 v[124:127], v[18:19], off offset:3904
	global_load_dwordx4 v[92:95], v[0:1], off
	s_load_dwordx2 s[12:13], s[0:1], 0x38
	s_load_dwordx4 s[8:11], s[6:7], 0x0
	v_cmp_gt_u16_e64 s[4:5], 28, v22
	s_waitcnt vmcnt(25)
	v_accvgpr_write_b32 a2, v28
	s_waitcnt vmcnt(24)
	v_mul_f64 v[96:97], v[62:63], v[54:55]
	v_mul_f64 v[18:19], v[60:61], v[54:55]
	v_fmac_f64_e32 v[96:97], v[60:61], v[52:53]
	v_fma_f64 v[98:99], v[62:63], v[52:53], -v[18:19]
	v_mul_f64 v[60:61], v[58:59], v[30:31]
	v_mul_f64 v[18:19], v[56:57], v[30:31]
	v_fmac_f64_e32 v[60:61], v[56:57], v[28:29]
	v_fma_f64 v[62:63], v[58:59], v[28:29], -v[18:19]
	s_waitcnt vmcnt(22)
	v_mul_f64 v[56:57], v[66:67], v[34:35]
	v_mul_f64 v[18:19], v[64:65], v[34:35]
	v_fmac_f64_e32 v[56:57], v[64:65], v[32:33]
	v_fma_f64 v[58:59], v[66:67], v[32:33], -v[18:19]
	ds_write_b128 v20, v[56:59] offset:896
	s_waitcnt vmcnt(20)
	v_mul_f64 v[56:57], v[70:71], v[38:39]
	v_mul_f64 v[18:19], v[68:69], v[38:39]
	v_fmac_f64_e32 v[56:57], v[68:69], v[36:37]
	v_fma_f64 v[58:59], v[70:71], v[36:37], -v[18:19]
	ds_write_b128 v20, v[56:59] offset:7616
	;; [unrolled: 6-line block ×3, first 2 shown]
	s_waitcnt vmcnt(16)
	v_mul_f64 v[56:57], v[4:5], v[46:47]
	v_fmac_f64_e32 v[56:57], v[2:3], v[44:45]
	v_mul_f64 v[2:3], v[2:3], v[46:47]
	v_fma_f64 v[58:59], v[4:5], v[44:45], -v[2:3]
	s_waitcnt vmcnt(14)
	v_mul_f64 v[2:3], v[8:9], v[50:51]
	v_mul_f64 v[4:5], v[6:7], v[50:51]
	v_fmac_f64_e32 v[2:3], v[6:7], v[48:49]
	v_fma_f64 v[4:5], v[8:9], v[48:49], -v[4:5]
	ds_write_b128 v20, v[2:5] offset:2688
	s_waitcnt vmcnt(12)
	v_mul_f64 v[2:3], v[12:13], v[102:103]
	v_mul_f64 v[4:5], v[10:11], v[102:103]
	v_fmac_f64_e32 v[2:3], v[10:11], v[100:101]
	v_fma_f64 v[4:5], v[12:13], v[100:101], -v[4:5]
	ds_write_b128 v20, v[2:5] offset:9408
	;; [unrolled: 6-line block ×6, first 2 shown]
	s_waitcnt vmcnt(2)
	v_mul_f64 v[2:3], v[90:91], v[122:123]
	v_mul_f64 v[4:5], v[88:89], v[122:123]
	v_fmac_f64_e32 v[2:3], v[88:89], v[120:121]
	v_fma_f64 v[4:5], v[90:91], v[120:121], -v[4:5]
	v_accvgpr_write_b32 a6, v32
	v_accvgpr_write_b32 a10, v36
	;; [unrolled: 1-line block ×11, first 2 shown]
	ds_write_b128 v20, v[2:5] offset:5376
	s_waitcnt vmcnt(0)
	v_mul_f64 v[2:3], v[94:95], v[126:127]
	v_mul_f64 v[4:5], v[92:93], v[126:127]
	v_accvgpr_write_b32 a50, v124
	v_accvgpr_write_b32 a3, v29
	;; [unrolled: 1-line block ×37, first 2 shown]
	v_fmac_f64_e32 v[2:3], v[92:93], v[124:125]
	v_accvgpr_write_b32 a51, v125
	v_accvgpr_write_b32 a52, v126
	v_accvgpr_write_b32 a53, v127
	v_fma_f64 v[4:5], v[94:95], v[124:125], -v[4:5]
	ds_write_b128 v20, v[96:99]
	ds_write_b128 v20, v[60:63] offset:6720
	ds_write_b128 v20, v[56:59] offset:8512
	;; [unrolled: 1-line block ×3, first 2 shown]
	s_and_saveexec_b64 s[6:7], s[4:5]
	s_cbranch_execz .LBB0_3
; %bb.2:
	v_accvgpr_read_b32 v13, a1
	v_accvgpr_read_b32 v12, a0
	v_lshl_add_u64 v[8:9], s[16:17], 4, v[0:1]
	v_add_co_u32_e32 v4, vcc, 0x1000, v12
	global_load_dwordx4 v[0:3], v[8:9], off
	s_nop 0
	v_addc_co_u32_e32 v5, vcc, 0, v13, vcc
	v_lshl_add_u64 v[8:9], s[2:3], 4, v[8:9]
	s_movk_i32 s2, 0x3000
	v_add_co_u32_e32 v12, vcc, s2, v12
	global_load_dwordx4 v[4:7], v[4:5], off offset:2176
	s_nop 0
	v_addc_co_u32_e32 v13, vcc, 0, v13, vcc
	global_load_dwordx4 v[8:11], v[8:9], off
	s_waitcnt vmcnt(1)
	v_mul_f64 v[16:17], v[2:3], v[6:7]
	global_load_dwordx4 v[12:15], v[12:13], off offset:704
	v_mul_f64 v[18:19], v[0:1], v[6:7]
	v_fmac_f64_e32 v[16:17], v[0:1], v[4:5]
	v_fma_f64 v[18:19], v[2:3], v[4:5], -v[18:19]
	s_waitcnt vmcnt(0)
	v_mul_f64 v[6:7], v[10:11], v[14:15]
	v_mul_f64 v[14:15], v[8:9], v[14:15]
	v_fmac_f64_e32 v[6:7], v[8:9], v[12:13]
	v_fma_f64 v[8:9], v[10:11], v[12:13], -v[14:15]
	ds_write_b128 v20, v[16:19] offset:6272
	ds_write_b128 v20, v[6:9] offset:12992
.LBB0_3:
	s_or_b64 exec, exec, s[6:7]
	s_waitcnt lgkmcnt(0)
	; wave barrier
	s_waitcnt lgkmcnt(0)
	ds_read_b128 v[0:3], v20
	ds_read_b128 v[104:107], v20 offset:896
	ds_read_b128 v[108:111], v20 offset:7616
	ds_read_b128 v[100:103], v20 offset:8512
	ds_read_b128 v[96:99], v20 offset:1792
	ds_read_b128 v[88:91], v20 offset:2688
	ds_read_b128 v[92:95], v20 offset:9408
	ds_read_b128 v[84:87], v20 offset:10304
	ds_read_b128 v[80:83], v20 offset:3584
	ds_read_b128 v[68:71], v20 offset:4480
	ds_read_b128 v[4:7], v20 offset:6720
	ds_read_b128 v[60:63], v20 offset:5376
	ds_read_b128 v[76:79], v20 offset:11200
	ds_read_b128 v[64:67], v20 offset:12096
                                        ; implicit-def: $vgpr56_vgpr57
                                        ; implicit-def: $vgpr72_vgpr73
	s_and_saveexec_b64 s[2:3], s[4:5]
	s_cbranch_execz .LBB0_5
; %bb.4:
	ds_read_b128 v[56:59], v20 offset:6272
	ds_read_b128 v[72:75], v20 offset:12992
.LBB0_5:
	s_or_b64 exec, exec, s[2:3]
	s_mov_b64 s[2:3], 0x70
	v_lshl_add_u64 v[16:17], v[22:23], 0, s[2:3]
	s_waitcnt lgkmcnt(3)
	v_add_f64 v[4:5], v[0:1], -v[4:5]
	v_add_f64 v[6:7], v[2:3], -v[6:7]
	v_lshl_add_u64 v[18:19], v[22:23], 0, 56
	v_fma_f64 v[0:1], v[0:1], 2.0, -v[4:5]
	v_fma_f64 v[2:3], v[2:3], 2.0, -v[6:7]
	v_add_f64 v[8:9], v[104:105], -v[108:109]
	v_add_f64 v[10:11], v[106:107], -v[110:111]
	v_lshlrev_b32_e32 v17, 5, v22
	s_mov_b64 s[2:3], 0xa8
	v_fma_f64 v[12:13], v[104:105], 2.0, -v[8:9]
	v_fma_f64 v[14:15], v[106:107], 2.0, -v[10:11]
	v_add_f64 v[100:101], v[96:97], -v[100:101]
	v_add_f64 v[102:103], v[98:99], -v[102:103]
	s_waitcnt lgkmcnt(0)
	; wave barrier
	s_waitcnt lgkmcnt(0)
	ds_write_b128 v17, v[0:3]
	v_lshlrev_b32_e32 v0, 5, v18
	v_lshl_add_u64 v[112:113], v[22:23], 0, s[2:3]
	s_mov_b64 s[2:3], 0xe0
	v_fma_f64 v[96:97], v[96:97], 2.0, -v[100:101]
	v_fma_f64 v[98:99], v[98:99], 2.0, -v[102:103]
	v_add_f64 v[92:93], v[88:89], -v[92:93]
	v_add_f64 v[94:95], v[90:91], -v[94:95]
	ds_write_b128 v17, v[4:7] offset:16
	ds_write_b128 v0, v[12:15]
	v_accvgpr_write_b32 a59, v0
	ds_write_b128 v0, v[8:11] offset:16
	v_lshlrev_b32_e32 v0, 5, v16
	s_load_dwordx2 s[0:1], s[0:1], 0x8
	v_lshl_add_u64 v[26:27], v[22:23], 0, s[2:3]
	v_lshlrev_b32_e32 v25, 1, v22
	v_fma_f64 v[88:89], v[88:89], 2.0, -v[92:93]
	v_fma_f64 v[90:91], v[90:91], 2.0, -v[94:95]
	v_add_f64 v[84:85], v[80:81], -v[84:85]
	v_add_f64 v[86:87], v[82:83], -v[86:87]
	ds_write_b128 v0, v[96:99]
	v_accvgpr_write_b32 a60, v0
	ds_write_b128 v0, v[100:103] offset:16
	v_lshlrev_b32_e32 v0, 5, v112
	s_mov_b64 s[2:3], 0x188
	v_fma_f64 v[80:81], v[80:81], 2.0, -v[84:85]
	v_fma_f64 v[82:83], v[82:83], 2.0, -v[86:87]
	v_add_f64 v[76:77], v[68:69], -v[76:77]
	v_add_f64 v[78:79], v[70:71], -v[78:79]
	;; [unrolled: 1-line block ×4, first 2 shown]
	v_accvgpr_write_b32 a57, v17
	ds_write_b128 v0, v[88:91]
	v_accvgpr_write_b32 a61, v0
	ds_write_b128 v0, v[92:95] offset:16
	v_lshlrev_b32_e32 v0, 5, v26
	v_add_u32_e32 v17, 0x230, v25
	v_lshl_add_u64 v[114:115], v[22:23], 0, s[2:3]
	v_fma_f64 v[68:69], v[68:69], 2.0, -v[76:77]
	v_fma_f64 v[70:71], v[70:71], 2.0, -v[78:79]
	;; [unrolled: 1-line block ×4, first 2 shown]
	ds_write_b128 v0, v[80:83]
	v_accvgpr_write_b32 a62, v0
	ds_write_b128 v0, v[84:87] offset:16
	v_lshlrev_b32_e32 v1, 4, v17
	v_lshlrev_b32_e32 v0, 4, v25
	v_add_u32_e32 v21, 0x2a0, v25
	v_add_f64 v[64:65], v[56:57], -v[72:73]
	v_add_f64 v[66:67], v[58:59], -v[74:75]
	ds_write_b128 v0, v[68:71] offset:8960
	v_accvgpr_write_b32 a63, v1
	ds_write_b128 v1, v[76:79] offset:16
	v_lshlrev_b32_e32 v1, 4, v21
	ds_write_b128 v0, v[108:111] offset:10752
	v_lshlrev_b32_e32 v0, 5, v114
	v_fma_f64 v[60:61], v[56:57], 2.0, -v[64:65]
	v_fma_f64 v[62:63], v[58:59], 2.0, -v[66:67]
	v_lshlrev_b32_e32 v27, 1, v18
	v_lshlrev_b32_e32 v23, 1, v16
	;; [unrolled: 1-line block ×4, first 2 shown]
	v_accvgpr_write_b32 a64, v1
	v_accvgpr_write_b32 a58, v0
	ds_write_b128 v1, v[104:107] offset:16
	s_and_saveexec_b64 s[2:3], s[4:5]
	s_cbranch_execz .LBB0_7
; %bb.6:
	v_accvgpr_read_b32 v0, a58
	ds_write_b128 v0, v[60:63]
	ds_write_b128 v0, v[64:67] offset:16
.LBB0_7:
	s_or_b64 exec, exec, s[2:3]
	s_waitcnt lgkmcnt(0)
	; wave barrier
	s_waitcnt lgkmcnt(0)
	ds_read_b128 v[92:95], v20
	ds_read_b128 v[84:87], v20 offset:896
	ds_read_b128 v[12:15], v20 offset:7616
	;; [unrolled: 1-line block ×13, first 2 shown]
	s_and_saveexec_b64 s[2:3], s[4:5]
	s_cbranch_execz .LBB0_9
; %bb.8:
	ds_read_b128 v[60:63], v20 offset:6272
	ds_read_b128 v[64:67], v20 offset:12992
.LBB0_9:
	s_or_b64 exec, exec, s[2:3]
	v_and_b32_e32 v40, 1, v22
	v_lshlrev_b32_e32 v28, 4, v40
	global_load_dwordx4 v[56:59], v28, s[0:1]
	s_movk_i32 s2, 0x7c
	s_waitcnt lgkmcnt(0)
	; wave barrier
	s_waitcnt lgkmcnt(0)
	s_movk_i32 s3, 0x2fc
	v_accvgpr_write_b32 a55, v40
	s_waitcnt vmcnt(0)
	v_mul_f64 v[32:33], v[14:15], v[58:59]
	v_fma_f64 v[32:33], v[12:13], v[56:57], -v[32:33]
	v_mul_f64 v[12:13], v[12:13], v[58:59]
	v_fmac_f64_e32 v[12:13], v[14:15], v[56:57]
	v_mul_f64 v[14:15], v[102:103], v[58:59]
	v_fma_f64 v[34:35], v[100:101], v[56:57], -v[14:15]
	v_mul_f64 v[14:15], v[10:11], v[58:59]
	v_mul_f64 v[36:37], v[100:101], v[58:59]
	v_fma_f64 v[38:39], v[8:9], v[56:57], -v[14:15]
	v_mul_f64 v[100:101], v[8:9], v[58:59]
	;; [unrolled: 3-line block ×3, first 2 shown]
	v_mul_f64 v[4:5], v[98:99], v[58:59]
	v_mul_f64 v[28:29], v[106:107], v[58:59]
	v_fma_f64 v[120:121], v[96:97], v[56:57], -v[4:5]
	v_mul_f64 v[4:5], v[2:3], v[58:59]
	v_fma_f64 v[28:29], v[104:105], v[56:57], -v[28:29]
	;; [unrolled: 2-line block ×3, first 2 shown]
	v_mul_f64 v[126:127], v[0:1], v[58:59]
	v_mul_f64 v[0:1], v[66:67], v[58:59]
	v_fmac_f64_e32 v[30:31], v[106:107], v[56:57]
	v_fma_f64 v[128:129], v[64:65], v[56:57], -v[0:1]
	v_add_f64 v[0:1], v[92:93], -v[28:29]
	v_and_or_b32 v28, v25, s2, v40
	v_fmac_f64_e32 v[126:127], v[2:3], v[56:57]
	v_add_f64 v[2:3], v[94:95], -v[30:31]
	v_lshlrev_b32_e32 v28, 4, v28
	s_movk_i32 s2, 0xfc
	v_fmac_f64_e32 v[100:101], v[10:11], v[56:57]
	v_fma_f64 v[4:5], v[92:93], 2.0, -v[0:1]
	v_add_f64 v[8:9], v[84:85], -v[32:33]
	v_add_f64 v[10:11], v[86:87], -v[12:13]
	ds_write_b128 v28, v[0:3] offset:32
	v_and_or_b32 v0, v27, s2, v40
	v_fmac_f64_e32 v[36:37], v[102:103], v[56:57]
	v_fmac_f64_e32 v[118:119], v[6:7], v[56:57]
	v_fma_f64 v[6:7], v[94:95], 2.0, -v[2:3]
	v_fma_f64 v[12:13], v[84:85], 2.0, -v[8:9]
	;; [unrolled: 1-line block ×3, first 2 shown]
	v_lshlrev_b32_e32 v0, 4, v0
	s_movk_i32 s2, 0x1fc
	v_add_f64 v[104:105], v[88:89], -v[34:35]
	v_add_f64 v[106:107], v[90:91], -v[36:37]
	ds_write_b128 v28, v[4:7]
	ds_write_b128 v0, v[12:15]
	v_accvgpr_write_b32 a66, v0
	ds_write_b128 v0, v[8:11] offset:32
	v_and_or_b32 v0, v23, s2, v40
	v_mul_f64 v[122:123], v[96:97], v[58:59]
	v_fma_f64 v[108:109], v[88:89], 2.0, -v[104:105]
	v_fma_f64 v[110:111], v[90:91], 2.0, -v[106:107]
	v_lshlrev_b32_e32 v0, 4, v0
	v_fmac_f64_e32 v[122:123], v[98:99], v[56:57]
	v_add_f64 v[96:97], v[76:77], -v[38:39]
	v_add_f64 v[98:99], v[78:79], -v[100:101]
	ds_write_b128 v0, v[108:111]
	v_accvgpr_write_b32 a67, v0
	ds_write_b128 v0, v[104:107] offset:32
	v_and_or_b32 v0, v113, s2, v40
	v_fma_f64 v[100:101], v[76:77], 2.0, -v[96:97]
	v_fma_f64 v[102:103], v[78:79], 2.0, -v[98:99]
	v_lshlrev_b32_e32 v0, 4, v0
	s_movk_i32 s2, 0x3fc
	v_add_f64 v[88:89], v[80:81], -v[116:117]
	v_add_f64 v[90:91], v[82:83], -v[118:119]
	ds_write_b128 v0, v[100:103]
	v_accvgpr_write_b32 a68, v0
	ds_write_b128 v0, v[96:99] offset:32
	v_and_or_b32 v0, v19, s2, v40
	v_fma_f64 v[92:93], v[80:81], 2.0, -v[88:89]
	v_fma_f64 v[94:95], v[82:83], 2.0, -v[90:91]
	v_lshlrev_b32_e32 v0, 4, v0
	v_add_f64 v[80:81], v[72:73], -v[120:121]
	v_add_f64 v[82:83], v[74:75], -v[122:123]
	ds_write_b128 v0, v[92:95]
	v_accvgpr_write_b32 a69, v0
	ds_write_b128 v0, v[88:91] offset:32
	v_and_or_b32 v0, v17, s3, v40
	v_fma_f64 v[84:85], v[72:73], 2.0, -v[80:81]
	v_fma_f64 v[86:87], v[74:75], 2.0, -v[82:83]
	v_lshlrev_b32_e32 v0, 4, v0
	v_mul_f64 v[64:65], v[64:65], v[58:59]
	v_add_f64 v[72:73], v[68:69], -v[124:125]
	v_add_f64 v[74:75], v[70:71], -v[126:127]
	ds_write_b128 v0, v[84:87]
	v_accvgpr_write_b32 a70, v0
	ds_write_b128 v0, v[80:83] offset:32
	v_and_or_b32 v0, v21, s2, v40
	v_fmac_f64_e32 v[64:65], v[66:67], v[56:57]
	v_fma_f64 v[76:77], v[68:69], 2.0, -v[72:73]
	v_fma_f64 v[78:79], v[70:71], 2.0, -v[74:75]
	v_lshlrev_b32_e32 v0, 4, v0
	v_add_f64 v[68:69], v[60:61], -v[128:129]
	v_add_f64 v[70:71], v[62:63], -v[64:65]
	ds_write_b128 v0, v[76:79]
	v_accvgpr_write_b32 a71, v0
	ds_write_b128 v0, v[72:75] offset:32
	v_lshlrev_b32_e32 v0, 1, v114
	v_fma_f64 v[64:65], v[60:61], 2.0, -v[68:69]
	v_fma_f64 v[66:67], v[62:63], 2.0, -v[70:71]
	v_accvgpr_write_b32 a65, v28
	v_accvgpr_write_b32 a54, v0
	s_and_saveexec_b64 s[2:3], s[4:5]
	s_cbranch_execz .LBB0_11
; %bb.10:
	s_movk_i32 s6, 0x37c
	v_accvgpr_read_b32 v0, a54
	v_accvgpr_read_b32 v1, a55
	v_and_or_b32 v0, v0, s6, v1
	v_lshlrev_b32_e32 v0, 4, v0
	ds_write_b128 v0, v[64:67]
	ds_write_b128 v0, v[68:71] offset:32
.LBB0_11:
	s_or_b64 exec, exec, s[2:3]
	s_waitcnt lgkmcnt(0)
	; wave barrier
	s_waitcnt lgkmcnt(0)
	ds_read_b128 v[96:99], v20
	ds_read_b128 v[84:87], v20 offset:896
	ds_read_b128 v[12:15], v20 offset:7616
	ds_read_b128 v[104:107], v20 offset:8512
	ds_read_b128 v[92:95], v20 offset:1792
	ds_read_b128 v[76:79], v20 offset:2688
	ds_read_b128 v[8:11], v20 offset:9408
	ds_read_b128 v[4:7], v20 offset:10304
	ds_read_b128 v[88:91], v20 offset:3584
	ds_read_b128 v[80:83], v20 offset:4480
	ds_read_b128 v[108:111], v20 offset:6720
	ds_read_b128 v[72:75], v20 offset:5376
	ds_read_b128 v[100:103], v20 offset:11200
	ds_read_b128 v[0:3], v20 offset:12096
	s_and_saveexec_b64 s[2:3], s[4:5]
	s_cbranch_execz .LBB0_13
; %bb.12:
	ds_read_b128 v[64:67], v20 offset:6272
	ds_read_b128 v[68:71], v20 offset:12992
.LBB0_13:
	s_or_b64 exec, exec, s[2:3]
	v_and_b32_e32 v40, 3, v22
	v_lshlrev_b32_e32 v28, 4, v40
	global_load_dwordx4 v[60:63], v28, s[0:1] offset:32
	s_movk_i32 s2, 0x78
	v_and_or_b32 v25, v25, s2, v40
	v_lshlrev_b32_e32 v25, 4, v25
	s_movk_i32 s2, 0xf8
	s_waitcnt lgkmcnt(0)
	; wave barrier
	s_waitcnt lgkmcnt(0)
	s_movk_i32 s3, 0x2f8
	v_accvgpr_write_b32 a72, v25
	v_accvgpr_write_b32 a56, v40
	s_waitcnt vmcnt(0)
	v_mul_f64 v[32:33], v[14:15], v[62:63]
	v_fma_f64 v[32:33], v[12:13], v[60:61], -v[32:33]
	v_mul_f64 v[12:13], v[12:13], v[62:63]
	v_fmac_f64_e32 v[12:13], v[14:15], v[60:61]
	v_mul_f64 v[14:15], v[106:107], v[62:63]
	v_fma_f64 v[34:35], v[104:105], v[60:61], -v[14:15]
	v_mul_f64 v[14:15], v[10:11], v[62:63]
	v_mul_f64 v[28:29], v[110:111], v[62:63]
	;; [unrolled: 1-line block ×4, first 2 shown]
	v_fma_f64 v[38:39], v[8:9], v[60:61], -v[14:15]
	v_mul_f64 v[104:105], v[8:9], v[62:63]
	v_mul_f64 v[8:9], v[6:7], v[62:63]
	v_fma_f64 v[28:29], v[108:109], v[60:61], -v[28:29]
	v_fmac_f64_e32 v[30:31], v[110:111], v[60:61]
	v_fma_f64 v[108:109], v[4:5], v[60:61], -v[8:9]
	v_mul_f64 v[110:111], v[4:5], v[62:63]
	v_mul_f64 v[4:5], v[102:103], v[62:63]
	v_fma_f64 v[114:115], v[100:101], v[60:61], -v[4:5]
	v_mul_f64 v[4:5], v[2:3], v[62:63]
	v_fma_f64 v[118:119], v[0:1], v[60:61], -v[4:5]
	v_mul_f64 v[120:121], v[0:1], v[62:63]
	v_mul_f64 v[0:1], v[70:71], v[62:63]
	v_fmac_f64_e32 v[120:121], v[2:3], v[60:61]
	v_fma_f64 v[122:123], v[68:69], v[60:61], -v[0:1]
	v_add_f64 v[0:1], v[96:97], -v[28:29]
	v_add_f64 v[2:3], v[98:99], -v[30:31]
	v_fmac_f64_e32 v[104:105], v[10:11], v[60:61]
	v_fma_f64 v[4:5], v[96:97], 2.0, -v[0:1]
	v_add_f64 v[8:9], v[84:85], -v[32:33]
	v_add_f64 v[10:11], v[86:87], -v[12:13]
	ds_write_b128 v25, v[0:3] offset:64
	v_and_or_b32 v0, v27, s2, v40
	v_fmac_f64_e32 v[36:37], v[106:107], v[60:61]
	v_fmac_f64_e32 v[110:111], v[6:7], v[60:61]
	v_fma_f64 v[6:7], v[98:99], 2.0, -v[2:3]
	v_fma_f64 v[12:13], v[84:85], 2.0, -v[8:9]
	;; [unrolled: 1-line block ×3, first 2 shown]
	v_lshlrev_b32_e32 v0, 4, v0
	s_movk_i32 s2, 0x1f8
	v_add_f64 v[96:97], v[92:93], -v[34:35]
	v_add_f64 v[98:99], v[94:95], -v[36:37]
	ds_write_b128 v25, v[4:7]
	ds_write_b128 v0, v[12:15]
	v_accvgpr_write_b32 a73, v0
	ds_write_b128 v0, v[8:11] offset:64
	v_and_or_b32 v0, v23, s2, v40
	v_mul_f64 v[116:117], v[100:101], v[62:63]
	v_fma_f64 v[92:93], v[92:93], 2.0, -v[96:97]
	v_fma_f64 v[94:95], v[94:95], 2.0, -v[98:99]
	v_lshlrev_b32_e32 v0, 4, v0
	v_fmac_f64_e32 v[116:117], v[102:103], v[60:61]
	v_add_f64 v[100:101], v[76:77], -v[38:39]
	v_add_f64 v[102:103], v[78:79], -v[104:105]
	ds_write_b128 v0, v[92:95]
	v_accvgpr_write_b32 a75, v0
	ds_write_b128 v0, v[96:99] offset:64
	v_and_or_b32 v0, v113, s2, v40
	v_fma_f64 v[104:105], v[76:77], 2.0, -v[100:101]
	v_fma_f64 v[106:107], v[78:79], 2.0, -v[102:103]
	v_lshlrev_b32_e32 v0, 4, v0
	s_movk_i32 s2, 0x3f8
	v_add_f64 v[84:85], v[88:89], -v[108:109]
	v_add_f64 v[86:87], v[90:91], -v[110:111]
	ds_write_b128 v0, v[104:107]
	v_accvgpr_write_b32 a74, v0
	ds_write_b128 v0, v[100:103] offset:64
	v_and_or_b32 v0, v19, s2, v40
	v_fma_f64 v[88:89], v[88:89], 2.0, -v[84:85]
	v_fma_f64 v[90:91], v[90:91], 2.0, -v[86:87]
	v_lshlrev_b32_e32 v0, 4, v0
	v_add_f64 v[76:77], v[80:81], -v[114:115]
	v_add_f64 v[78:79], v[82:83], -v[116:117]
	ds_write_b128 v0, v[88:91]
	v_accvgpr_write_b32 a76, v0
	ds_write_b128 v0, v[84:87] offset:64
	v_and_or_b32 v0, v17, s3, v40
	v_fma_f64 v[80:81], v[80:81], 2.0, -v[76:77]
	v_fma_f64 v[82:83], v[82:83], 2.0, -v[78:79]
	v_lshlrev_b32_e32 v0, 4, v0
	v_mul_f64 v[124:125], v[68:69], v[62:63]
	ds_write_b128 v0, v[80:83]
	v_accvgpr_write_b32 a77, v0
	ds_write_b128 v0, v[76:79] offset:64
	v_and_or_b32 v0, v21, s2, v40
	v_fmac_f64_e32 v[124:125], v[70:71], v[60:61]
	v_add_f64 v[68:69], v[72:73], -v[118:119]
	v_add_f64 v[70:71], v[74:75], -v[120:121]
	v_lshlrev_b32_e32 v0, 4, v0
	v_fma_f64 v[72:73], v[72:73], 2.0, -v[68:69]
	v_fma_f64 v[74:75], v[74:75], 2.0, -v[70:71]
	v_add_f64 v[136:137], v[64:65], -v[122:123]
	v_add_f64 v[138:139], v[66:67], -v[124:125]
	v_accvgpr_write_b32 a78, v0
	ds_write_b128 v0, v[72:75]
	ds_write_b128 v0, v[68:71] offset:64
	s_and_saveexec_b64 s[2:3], s[4:5]
	s_cbranch_execz .LBB0_15
; %bb.14:
	s_movk_i32 s6, 0x378
	v_accvgpr_read_b32 v4, a54
	v_accvgpr_read_b32 v5, a56
	v_and_or_b32 v4, v4, s6, v5
	v_fma_f64 v[2:3], v[66:67], 2.0, -v[138:139]
	v_fma_f64 v[0:1], v[64:65], 2.0, -v[136:137]
	v_lshlrev_b32_e32 v4, 4, v4
	ds_write_b128 v4, v[0:3]
	ds_write_b128 v4, v[136:139] offset:64
.LBB0_15:
	s_or_b64 exec, exec, s[2:3]
	v_and_b32_e32 v17, 7, v22
	v_lshlrev_b32_e32 v0, 5, v17
	s_waitcnt lgkmcnt(0)
	; wave barrier
	s_waitcnt lgkmcnt(0)
	global_load_dwordx4 v[68:71], v0, s[0:1] offset:96
	global_load_dwordx4 v[64:67], v0, s[0:1] offset:112
	ds_read_b128 v[88:91], v20
	ds_read_b128 v[84:87], v20 offset:896
	ds_read_b128 v[0:3], v20 offset:8960
	;; [unrolled: 1-line block ×14, first 2 shown]
	s_mov_b32 s2, 0xe8584caa
	s_mov_b32 s3, 0x3febb67a
	;; [unrolled: 1-line block ×4, first 2 shown]
	v_lshrrev_b32_e32 v19, 3, v22
	v_mul_u32_u24_e32 v19, 24, v19
	v_or_b32_e32 v19, v19, v17
	v_lshlrev_b32_e32 v19, 4, v19
	s_waitcnt lgkmcnt(0)
	; wave barrier
	s_waitcnt lgkmcnt(0)
	v_accvgpr_write_b32 a79, v19
	s_mov_b32 s19, 0xbfee6f0e
	s_mov_b32 s16, 0x372fe950
	;; [unrolled: 1-line block ×4, first 2 shown]
                                        ; implicit-def: $vgpr212_vgpr213
                                        ; implicit-def: $vgpr216_vgpr217
                                        ; implicit-def: $vgpr204_vgpr205
                                        ; implicit-def: $vgpr208_vgpr209
	s_waitcnt vmcnt(1)
	v_mul_f64 v[28:29], v[102:103], v[70:71]
	s_waitcnt vmcnt(0)
	v_mul_f64 v[32:33], v[2:3], v[66:67]
	v_mul_f64 v[36:37], v[10:11], v[70:71]
	;; [unrolled: 1-line block ×7, first 2 shown]
	v_fma_f64 v[28:29], v[100:101], v[68:69], -v[28:29]
	v_fma_f64 v[0:1], v[0:1], v[64:65], -v[32:33]
	v_fma_f64 v[32:33], v[8:9], v[68:69], -v[36:37]
	v_mul_f64 v[122:123], v[14:15], v[70:71]
	v_fmac_f64_e32 v[38:39], v[10:11], v[68:69]
	v_fma_f64 v[36:37], v[4:5], v[64:65], -v[118:119]
	v_fmac_f64_e32 v[120:121], v[6:7], v[64:65]
	v_fmac_f64_e32 v[124:125], v[14:15], v[68:69]
	v_add_f64 v[4:5], v[28:29], v[0:1]
	v_add_f64 v[14:15], v[84:85], v[32:33]
	v_mul_f64 v[30:31], v[100:101], v[70:71]
	v_mul_f64 v[126:127], v[94:95], v[66:67]
	v_fmac_f64_e32 v[34:35], v[2:3], v[64:65]
	v_fma_f64 v[100:101], v[12:13], v[68:69], -v[122:123]
	v_add_f64 v[2:3], v[88:89], v[28:29]
	v_add_f64 v[12:13], v[28:29], -v[0:1]
	v_add_f64 v[28:29], v[32:33], v[36:37]
	v_fmac_f64_e32 v[88:89], -0.5, v[4:5]
	v_add_f64 v[4:5], v[14:15], v[36:37]
	v_add_f64 v[14:15], v[38:39], v[120:121]
	v_mul_f64 v[128:129], v[92:93], v[66:67]
	v_fmac_f64_e32 v[30:31], v[102:103], v[68:69]
	v_fma_f64 v[102:103], v[92:93], v[64:65], -v[126:127]
	v_add_f64 v[92:93], v[86:87], v[38:39]
	v_fmac_f64_e32 v[84:85], -0.5, v[28:29]
	v_fmac_f64_e32 v[86:87], -0.5, v[14:15]
	v_add_f64 v[28:29], v[32:33], -v[36:37]
	v_add_f64 v[6:7], v[30:31], -v[34:35]
	v_add_f64 v[8:9], v[90:91], v[30:31]
	v_fma_f64 v[14:15], s[6:7], v[28:29], v[86:87]
	v_fmac_f64_e32 v[86:87], s[2:3], v[28:29]
	v_add_f64 v[28:29], v[80:81], v[100:101]
	v_fmac_f64_e32 v[128:129], v[94:95], v[64:65]
	v_add_f64 v[10:11], v[30:31], v[34:35]
	v_add_f64 v[0:1], v[2:3], v[0:1]
	;; [unrolled: 1-line block ×3, first 2 shown]
	v_fma_f64 v[8:9], s[2:3], v[6:7], v[88:89]
	v_fmac_f64_e32 v[88:89], s[6:7], v[6:7]
	v_add_f64 v[6:7], v[92:93], v[120:121]
	v_add_f64 v[92:93], v[28:29], v[102:103]
	;; [unrolled: 1-line block ×3, first 2 shown]
	v_mul_f64 v[132:133], v[104:105], v[70:71]
	v_mul_f64 v[134:135], v[98:99], v[66:67]
	v_fmac_f64_e32 v[90:91], -0.5, v[10:11]
	v_fmac_f64_e32 v[80:81], -0.5, v[28:29]
	v_add_f64 v[28:29], v[124:125], -v[128:129]
	v_mul_f64 v[130:131], v[106:107], v[70:71]
	v_mul_f64 v[140:141], v[96:97], v[66:67]
	v_fmac_f64_e32 v[132:133], v[106:107], v[68:69]
	v_fma_f64 v[106:107], v[96:97], v[64:65], -v[134:135]
	v_fma_f64 v[10:11], s[6:7], v[12:13], v[90:91]
	v_fma_f64 v[96:97], s[2:3], v[28:29], v[80:81]
	v_fmac_f64_e32 v[80:81], s[6:7], v[28:29]
	v_add_f64 v[28:29], v[82:83], v[124:125]
	ds_write_b128 v19, v[0:3]
	ds_write_b128 v19, v[8:11] offset:128
	v_lshrrev_b32_e32 v0, 3, v18
	v_add_f64 v[94:95], v[28:29], v[128:129]
	v_add_f64 v[28:29], v[124:125], v[128:129]
	v_mul_u32_u24_e32 v0, 24, v0
	v_fma_f64 v[118:119], v[104:105], v[68:69], -v[130:131]
	v_add_f64 v[30:31], v[38:39], -v[120:121]
	v_fmac_f64_e32 v[82:83], -0.5, v[28:29]
	v_add_f64 v[28:29], v[100:101], -v[102:103]
	v_or_b32_e32 v0, v0, v17
	v_fmac_f64_e32 v[140:141], v[98:99], v[64:65]
	v_fmac_f64_e32 v[90:91], s[2:3], v[12:13]
	v_fma_f64 v[12:13], s[2:3], v[30:31], v[84:85]
	v_fmac_f64_e32 v[84:85], s[6:7], v[30:31]
	v_fma_f64 v[98:99], s[6:7], v[28:29], v[82:83]
	v_fmac_f64_e32 v[82:83], s[2:3], v[28:29]
	v_add_f64 v[28:29], v[76:77], v[118:119]
	v_lshlrev_b32_e32 v0, 4, v0
	v_add_f64 v[100:101], v[28:29], v[106:107]
	v_add_f64 v[28:29], v[118:119], v[106:107]
	ds_write_b128 v19, v[88:91] offset:256
	ds_write_b128 v0, v[4:7]
	ds_write_b128 v0, v[12:15] offset:128
	v_accvgpr_write_b32 a80, v0
	ds_write_b128 v0, v[84:87] offset:256
	v_lshrrev_b32_e32 v0, 3, v16
	v_fmac_f64_e32 v[76:77], -0.5, v[28:29]
	v_add_f64 v[28:29], v[132:133], -v[140:141]
	v_mul_u32_u24_e32 v0, 24, v0
	v_fma_f64 v[104:105], s[2:3], v[28:29], v[76:77]
	v_fmac_f64_e32 v[76:77], s[6:7], v[28:29]
	v_add_f64 v[28:29], v[78:79], v[132:133]
	v_or_b32_e32 v0, v0, v17
	v_mul_f64 v[142:143], v[110:111], v[70:71]
	v_add_f64 v[102:103], v[28:29], v[140:141]
	v_add_f64 v[28:29], v[132:133], v[140:141]
	v_lshlrev_b32_e32 v0, 4, v0
	v_mul_f64 v[146:147], v[116:117], v[66:67]
	v_fma_f64 v[122:123], v[108:109], v[68:69], -v[142:143]
	v_fmac_f64_e32 v[78:79], -0.5, v[28:29]
	v_add_f64 v[28:29], v[118:119], -v[106:107]
	ds_write_b128 v0, v[92:95]
	ds_write_b128 v0, v[96:99] offset:128
	v_accvgpr_write_b32 a81, v0
	ds_write_b128 v0, v[80:83] offset:256
	v_lshrrev_b32_e32 v0, 3, v112
	v_mul_f64 v[144:145], v[108:109], v[70:71]
	v_mul_f64 v[148:149], v[114:115], v[66:67]
	v_fma_f64 v[126:127], v[114:115], v[64:65], -v[146:147]
	v_fma_f64 v[106:107], s[6:7], v[28:29], v[78:79]
	v_fmac_f64_e32 v[78:79], s[2:3], v[28:29]
	v_add_f64 v[28:29], v[72:73], v[122:123]
	v_mul_u32_u24_e32 v0, 24, v0
	v_fmac_f64_e32 v[144:145], v[110:111], v[68:69]
	v_fmac_f64_e32 v[148:149], v[116:117], v[64:65]
	v_add_f64 v[108:109], v[28:29], v[126:127]
	v_add_f64 v[28:29], v[122:123], v[126:127]
	v_or_b32_e32 v0, v0, v17
	v_fmac_f64_e32 v[72:73], -0.5, v[28:29]
	v_add_f64 v[28:29], v[144:145], -v[148:149]
	v_lshlrev_b32_e32 v0, 4, v0
	v_fma_f64 v[114:115], s[2:3], v[28:29], v[72:73]
	v_fmac_f64_e32 v[72:73], s[6:7], v[28:29]
	v_add_f64 v[28:29], v[74:75], v[144:145]
	ds_write_b128 v0, v[100:103]
	ds_write_b128 v0, v[104:107] offset:128
	v_accvgpr_write_b32 a82, v0
	ds_write_b128 v0, v[76:79] offset:256
	v_lshrrev_b32_e32 v0, 3, v26
	v_add_f64 v[110:111], v[28:29], v[148:149]
	v_add_f64 v[28:29], v[144:145], v[148:149]
	v_mul_u32_u24_e32 v0, 24, v0
	v_fmac_f64_e32 v[74:75], -0.5, v[28:29]
	v_add_f64 v[28:29], v[122:123], -v[126:127]
	v_or_b32_e32 v0, v0, v17
	v_fma_f64 v[116:117], s[6:7], v[28:29], v[74:75]
	v_fmac_f64_e32 v[74:75], s[2:3], v[28:29]
	v_lshlrev_b32_e32 v0, 4, v0
	s_movk_i32 s2, 0xab
	ds_write_b128 v0, v[108:111]
	ds_write_b128 v0, v[114:117] offset:128
	v_accvgpr_write_b32 a83, v0
	ds_write_b128 v0, v[72:75] offset:256
	v_mul_lo_u16_sdwa v0, v22, s2 dst_sel:DWORD dst_unused:UNUSED_PAD src0_sel:BYTE_0 src1_sel:DWORD
	v_lshrrev_b16_e32 v17, 12, v0
	v_mul_lo_u16_e32 v0, 24, v17
	v_sub_u16_e32 v0, v22, v0
	v_and_b32_e32 v19, 0xff, v0
	v_lshlrev_b32_e32 v0, 6, v19
	s_waitcnt lgkmcnt(0)
	; wave barrier
	s_waitcnt lgkmcnt(0)
	global_load_dwordx4 v[84:87], v0, s[0:1] offset:352
	global_load_dwordx4 v[80:83], v0, s[0:1] offset:368
	;; [unrolled: 1-line block ×4, first 2 shown]
	v_mul_lo_u16_sdwa v0, v18, s2 dst_sel:DWORD dst_unused:UNUSED_PAD src0_sel:BYTE_0 src1_sel:DWORD
	v_lshrrev_b16_e32 v23, 12, v0
	v_mul_lo_u16_e32 v0, 24, v23
	v_sub_u16_e32 v0, v18, v0
	v_and_b32_e32 v18, 0xff, v0
	v_lshlrev_b32_e32 v0, 6, v18
	global_load_dwordx4 v[100:103], v0, s[0:1] offset:352
	global_load_dwordx4 v[96:99], v0, s[0:1] offset:368
	;; [unrolled: 1-line block ×4, first 2 shown]
	v_mul_lo_u16_sdwa v0, v16, s2 dst_sel:DWORD dst_unused:UNUSED_PAD src0_sel:BYTE_0 src1_sel:DWORD
	v_lshrrev_b16_e32 v25, 12, v0
	v_mul_lo_u16_e32 v0, 24, v25
	v_sub_u16_e32 v0, v16, v0
	v_and_b32_e32 v40, 0xff, v0
	v_lshlrev_b32_e32 v0, 6, v40
	global_load_dwordx4 v[128:131], v0, s[0:1] offset:352
	global_load_dwordx4 v[120:123], v0, s[0:1] offset:368
	;; [unrolled: 1-line block ×4, first 2 shown]
	ds_read_b128 v[124:127], v20
	ds_read_b128 v[116:119], v20 offset:896
	ds_read_b128 v[0:3], v20 offset:5376
	;; [unrolled: 1-line block ×14, first 2 shown]
	s_mov_b32 s6, 0x134454ff
	s_mov_b32 s7, 0x3fee6f0e
	;; [unrolled: 1-line block ×6, first 2 shown]
	s_waitcnt lgkmcnt(0)
	; wave barrier
	s_waitcnt vmcnt(11) lgkmcnt(0)
	v_mul_f64 v[26:27], v[134:135], v[86:87]
	s_waitcnt vmcnt(10)
	v_mul_f64 v[30:31], v[2:3], v[82:83]
	v_fma_f64 v[30:31], v[0:1], v[80:81], -v[30:31]
	v_mul_f64 v[32:33], v[0:1], v[82:83]
	s_waitcnt vmcnt(9)
	v_mul_f64 v[0:1], v[150:151], v[78:79]
	v_fma_f64 v[34:35], v[148:149], v[76:77], -v[0:1]
	s_waitcnt vmcnt(8)
	v_mul_f64 v[0:1], v[10:11], v[74:75]
	v_fma_f64 v[26:27], v[132:133], v[84:85], -v[26:27]
	v_fma_f64 v[38:39], v[8:9], v[72:73], -v[0:1]
	s_waitcnt vmcnt(7)
	v_mul_f64 v[0:1], v[142:143], v[102:103]
	v_mul_f64 v[28:29], v[132:133], v[86:87]
	v_fma_f64 v[170:171], v[140:141], v[100:101], -v[0:1]
	s_waitcnt vmcnt(6)
	v_mul_f64 v[0:1], v[6:7], v[98:99]
	v_add_f64 v[132:133], v[124:125], v[26:27]
	v_fma_f64 v[174:175], v[4:5], v[96:97], -v[0:1]
	s_waitcnt vmcnt(5)
	v_mul_f64 v[0:1], v[158:159], v[94:95]
	v_add_f64 v[132:133], v[132:133], v[30:31]
	v_mul_f64 v[168:169], v[8:9], v[74:75]
	v_fma_f64 v[178:179], v[156:157], v[92:93], -v[0:1]
	s_waitcnt vmcnt(4)
	v_mul_f64 v[0:1], v[14:15], v[90:91]
	v_add_f64 v[132:133], v[132:133], v[34:35]
	v_fmac_f64_e32 v[28:29], v[134:135], v[84:85]
	v_mul_f64 v[36:37], v[148:149], v[78:79]
	v_fmac_f64_e32 v[168:169], v[10:11], v[72:73]
	v_mul_f64 v[172:173], v[140:141], v[102:103]
	v_fma_f64 v[182:183], v[12:13], v[88:89], -v[0:1]
	s_waitcnt vmcnt(3)
	v_mul_f64 v[0:1], v[146:147], v[130:131]
	v_add_f64 v[140:141], v[132:133], v[38:39]
	v_add_f64 v[132:133], v[30:31], v[34:35]
	v_fmac_f64_e32 v[32:33], v[2:3], v[80:81]
	v_fmac_f64_e32 v[36:37], v[150:151], v[76:77]
	v_fma_f64 v[8:9], v[144:145], v[128:129], -v[0:1]
	v_mul_f64 v[0:1], v[144:145], v[130:131]
	v_fma_f64 v[132:133], -0.5, v[132:133], v[124:125]
	v_add_f64 v[134:135], v[28:29], -v[168:169]
	v_fmac_f64_e32 v[172:173], v[142:143], v[100:101]
	v_fmac_f64_e32 v[0:1], v[146:147], v[128:129]
	v_fma_f64 v[144:145], s[6:7], v[134:135], v[132:133]
	v_add_f64 v[142:143], v[32:33], -v[36:37]
	v_add_f64 v[146:147], v[26:27], -v[30:31]
	;; [unrolled: 1-line block ×3, first 2 shown]
	v_fmac_f64_e32 v[132:133], s[18:19], v[134:135]
	v_fmac_f64_e32 v[144:145], s[2:3], v[142:143]
	v_add_f64 v[146:147], v[146:147], v[148:149]
	v_fmac_f64_e32 v[132:133], s[20:21], v[142:143]
	v_fmac_f64_e32 v[144:145], s[16:17], v[146:147]
	;; [unrolled: 1-line block ×3, first 2 shown]
	v_add_f64 v[146:147], v[26:27], v[38:39]
	v_fmac_f64_e32 v[124:125], -0.5, v[146:147]
	v_fma_f64 v[148:149], s[18:19], v[142:143], v[124:125]
	v_fmac_f64_e32 v[124:125], s[6:7], v[142:143]
	v_fmac_f64_e32 v[148:149], s[2:3], v[134:135]
	;; [unrolled: 1-line block ×3, first 2 shown]
	v_add_f64 v[134:135], v[126:127], v[28:29]
	v_add_f64 v[134:135], v[134:135], v[32:33]
	;; [unrolled: 1-line block ×3, first 2 shown]
	v_add_f64 v[146:147], v[30:31], -v[26:27]
	v_add_f64 v[150:151], v[34:35], -v[38:39]
	v_add_f64 v[142:143], v[134:135], v[168:169]
	v_add_f64 v[134:135], v[32:33], v[36:37]
	;; [unrolled: 1-line block ×3, first 2 shown]
	v_fma_f64 v[134:135], -0.5, v[134:135], v[126:127]
	v_add_f64 v[26:27], v[26:27], -v[38:39]
	v_fmac_f64_e32 v[148:149], s[16:17], v[146:147]
	v_fmac_f64_e32 v[124:125], s[16:17], v[146:147]
	v_fma_f64 v[146:147], s[18:19], v[26:27], v[134:135]
	v_add_f64 v[30:31], v[30:31], -v[34:35]
	v_add_f64 v[34:35], v[28:29], -v[32:33]
	;; [unrolled: 1-line block ×3, first 2 shown]
	v_fmac_f64_e32 v[134:135], s[6:7], v[26:27]
	v_fmac_f64_e32 v[146:147], s[20:21], v[30:31]
	v_add_f64 v[34:35], v[34:35], v[38:39]
	v_fmac_f64_e32 v[134:135], s[2:3], v[30:31]
	v_fmac_f64_e32 v[146:147], s[16:17], v[34:35]
	;; [unrolled: 1-line block ×3, first 2 shown]
	v_add_f64 v[34:35], v[28:29], v[168:169]
	v_fmac_f64_e32 v[126:127], -0.5, v[34:35]
	v_fma_f64 v[150:151], s[6:7], v[30:31], v[126:127]
	v_fmac_f64_e32 v[126:127], s[18:19], v[30:31]
	v_fmac_f64_e32 v[150:151], s[20:21], v[26:27]
	;; [unrolled: 1-line block ×3, first 2 shown]
	v_add_f64 v[26:27], v[116:117], v[170:171]
	v_add_f64 v[26:27], v[26:27], v[174:175]
	v_mul_f64 v[184:185], v[12:13], v[90:91]
	s_waitcnt vmcnt(2)
	v_mul_f64 v[2:3], v[154:155], v[122:123]
	v_add_f64 v[26:27], v[26:27], v[178:179]
	v_mul_f64 v[176:177], v[4:5], v[98:99]
	v_mul_f64 v[180:181], v[156:157], v[94:95]
	v_fmac_f64_e32 v[184:185], v[14:15], v[88:89]
	v_fma_f64 v[10:11], v[152:153], v[120:121], -v[2:3]
	v_mul_f64 v[2:3], v[152:153], v[122:123]
	v_add_f64 v[28:29], v[32:33], -v[28:29]
	v_add_f64 v[32:33], v[36:37], -v[168:169]
	v_add_f64 v[152:153], v[26:27], v[182:183]
	v_add_f64 v[26:27], v[174:175], v[178:179]
	v_fmac_f64_e32 v[176:177], v[6:7], v[96:97]
	v_fmac_f64_e32 v[180:181], v[158:159], v[92:93]
	s_waitcnt vmcnt(1)
	v_mul_f64 v[4:5], v[162:163], v[114:115]
	v_add_f64 v[28:29], v[28:29], v[32:33]
	v_fma_f64 v[156:157], -0.5, v[26:27], v[116:117]
	v_add_f64 v[26:27], v[172:173], -v[184:185]
	v_fma_f64 v[12:13], v[160:161], v[112:113], -v[4:5]
	v_mul_f64 v[4:5], v[160:161], v[114:115]
	v_fmac_f64_e32 v[150:151], s[16:17], v[28:29]
	v_fmac_f64_e32 v[126:127], s[16:17], v[28:29]
	v_fma_f64 v[160:161], s[6:7], v[26:27], v[156:157]
	v_add_f64 v[28:29], v[176:177], -v[180:181]
	v_add_f64 v[30:31], v[170:171], -v[174:175]
	;; [unrolled: 1-line block ×3, first 2 shown]
	v_fmac_f64_e32 v[156:157], s[18:19], v[26:27]
	v_fmac_f64_e32 v[160:161], s[2:3], v[28:29]
	v_add_f64 v[30:31], v[30:31], v[32:33]
	v_fmac_f64_e32 v[156:157], s[20:21], v[28:29]
	v_fmac_f64_e32 v[160:161], s[16:17], v[30:31]
	;; [unrolled: 1-line block ×3, first 2 shown]
	v_add_f64 v[30:31], v[170:171], v[182:183]
	s_waitcnt vmcnt(0)
	v_mul_f64 v[6:7], v[166:167], v[106:107]
	v_fmac_f64_e32 v[116:117], -0.5, v[30:31]
	v_fma_f64 v[14:15], v[164:165], v[104:105], -v[6:7]
	v_mul_f64 v[6:7], v[164:165], v[106:107]
	v_fma_f64 v[164:165], s[18:19], v[28:29], v[116:117]
	v_fmac_f64_e32 v[116:117], s[6:7], v[28:29]
	v_fmac_f64_e32 v[164:165], s[2:3], v[26:27]
	;; [unrolled: 1-line block ×3, first 2 shown]
	v_add_f64 v[26:27], v[118:119], v[172:173]
	v_add_f64 v[26:27], v[26:27], v[176:177]
	;; [unrolled: 1-line block ×3, first 2 shown]
	v_fmac_f64_e32 v[2:3], v[154:155], v[120:121]
	v_add_f64 v[30:31], v[174:175], -v[170:171]
	v_add_f64 v[32:33], v[178:179], -v[182:183]
	v_add_f64 v[154:155], v[26:27], v[184:185]
	v_add_f64 v[26:27], v[176:177], v[180:181]
	;; [unrolled: 1-line block ×3, first 2 shown]
	v_fma_f64 v[158:159], -0.5, v[26:27], v[118:119]
	v_add_f64 v[26:27], v[170:171], -v[182:183]
	v_fmac_f64_e32 v[4:5], v[162:163], v[112:113]
	v_fmac_f64_e32 v[164:165], s[16:17], v[30:31]
	;; [unrolled: 1-line block ×3, first 2 shown]
	v_fma_f64 v[162:163], s[18:19], v[26:27], v[158:159]
	v_add_f64 v[28:29], v[174:175], -v[178:179]
	v_add_f64 v[30:31], v[172:173], -v[176:177]
	;; [unrolled: 1-line block ×3, first 2 shown]
	v_fmac_f64_e32 v[158:159], s[6:7], v[26:27]
	v_fmac_f64_e32 v[162:163], s[20:21], v[28:29]
	v_add_f64 v[30:31], v[30:31], v[32:33]
	v_fmac_f64_e32 v[158:159], s[2:3], v[28:29]
	v_fmac_f64_e32 v[162:163], s[16:17], v[30:31]
	;; [unrolled: 1-line block ×3, first 2 shown]
	v_add_f64 v[30:31], v[172:173], v[184:185]
	v_fmac_f64_e32 v[118:119], -0.5, v[30:31]
	v_fmac_f64_e32 v[6:7], v[166:167], v[104:105]
	v_fma_f64 v[166:167], s[6:7], v[28:29], v[118:119]
	v_fmac_f64_e32 v[118:119], s[18:19], v[28:29]
	v_fmac_f64_e32 v[166:167], s[20:21], v[26:27]
	;; [unrolled: 1-line block ×3, first 2 shown]
	v_add_f64 v[26:27], v[108:109], v[8:9]
	v_add_f64 v[26:27], v[26:27], v[10:11]
	;; [unrolled: 1-line block ×3, first 2 shown]
	v_add_f64 v[30:31], v[176:177], -v[172:173]
	v_add_f64 v[32:33], v[180:181], -v[184:185]
	v_add_f64 v[168:169], v[26:27], v[14:15]
	v_add_f64 v[26:27], v[10:11], v[12:13]
	;; [unrolled: 1-line block ×3, first 2 shown]
	v_fma_f64 v[192:193], -0.5, v[26:27], v[108:109]
	v_add_f64 v[26:27], v[0:1], -v[6:7]
	v_fmac_f64_e32 v[166:167], s[16:17], v[30:31]
	v_fmac_f64_e32 v[118:119], s[16:17], v[30:31]
	v_fma_f64 v[172:173], s[6:7], v[26:27], v[192:193]
	v_add_f64 v[28:29], v[2:3], -v[4:5]
	v_add_f64 v[30:31], v[8:9], -v[10:11]
	;; [unrolled: 1-line block ×3, first 2 shown]
	v_fmac_f64_e32 v[192:193], s[18:19], v[26:27]
	v_fmac_f64_e32 v[172:173], s[2:3], v[28:29]
	v_add_f64 v[30:31], v[30:31], v[32:33]
	v_fmac_f64_e32 v[192:193], s[20:21], v[28:29]
	v_fmac_f64_e32 v[172:173], s[16:17], v[30:31]
	;; [unrolled: 1-line block ×3, first 2 shown]
	v_add_f64 v[30:31], v[8:9], v[14:15]
	v_fmac_f64_e32 v[108:109], -0.5, v[30:31]
	v_fma_f64 v[176:177], s[18:19], v[28:29], v[108:109]
	v_fmac_f64_e32 v[108:109], s[6:7], v[28:29]
	v_fmac_f64_e32 v[176:177], s[2:3], v[26:27]
	;; [unrolled: 1-line block ×3, first 2 shown]
	v_add_f64 v[26:27], v[110:111], v[0:1]
	v_add_f64 v[26:27], v[26:27], v[2:3]
	;; [unrolled: 1-line block ×5, first 2 shown]
	v_add_f64 v[30:31], v[10:11], -v[8:9]
	v_fma_f64 v[194:195], -0.5, v[26:27], v[110:111]
	v_add_f64 v[8:9], v[8:9], -v[14:15]
	v_add_f64 v[32:33], v[12:13], -v[14:15]
	v_fma_f64 v[174:175], s[18:19], v[8:9], v[194:195]
	v_add_f64 v[10:11], v[10:11], -v[12:13]
	v_add_f64 v[12:13], v[0:1], -v[2:3]
	;; [unrolled: 1-line block ×3, first 2 shown]
	v_fmac_f64_e32 v[194:195], s[6:7], v[8:9]
	v_fmac_f64_e32 v[174:175], s[20:21], v[10:11]
	v_add_f64 v[12:13], v[12:13], v[14:15]
	v_fmac_f64_e32 v[194:195], s[2:3], v[10:11]
	v_fmac_f64_e32 v[174:175], s[16:17], v[12:13]
	;; [unrolled: 1-line block ×3, first 2 shown]
	v_add_f64 v[12:13], v[0:1], v[6:7]
	v_fmac_f64_e32 v[110:111], -0.5, v[12:13]
	v_fma_f64 v[178:179], s[6:7], v[10:11], v[110:111]
	v_add_f64 v[0:1], v[2:3], -v[0:1]
	v_add_f64 v[2:3], v[4:5], -v[6:7]
	v_fmac_f64_e32 v[110:111], s[18:19], v[10:11]
	v_fmac_f64_e32 v[178:179], s[20:21], v[8:9]
	v_add_f64 v[0:1], v[0:1], v[2:3]
	v_fmac_f64_e32 v[110:111], s[2:3], v[8:9]
	v_fmac_f64_e32 v[178:179], s[16:17], v[0:1]
	;; [unrolled: 1-line block ×3, first 2 shown]
	v_mul_u32_u24_e32 v0, 0x78, v17
	v_add_lshl_u32 v21, v0, v19, 4
	v_mul_u32_u24_e32 v0, 0x78, v23
	v_add_f64 v[30:31], v[30:31], v[32:33]
	v_add_lshl_u32 v23, v0, v18, 4
	v_mul_u32_u24_e32 v0, 0x78, v25
	v_fmac_f64_e32 v[176:177], s[16:17], v[30:31]
	v_fmac_f64_e32 v[108:109], s[16:17], v[30:31]
	v_add_lshl_u32 v25, v0, v40, 4
	ds_write_b128 v21, v[140:143]
	ds_write_b128 v21, v[144:147] offset:384
	ds_write_b128 v21, v[148:151] offset:768
	ds_write_b128 v21, v[124:127] offset:1152
	ds_write_b128 v21, v[132:135] offset:1536
	ds_write_b128 v23, v[152:155]
	ds_write_b128 v23, v[160:163] offset:384
	ds_write_b128 v23, v[164:167] offset:768
	ds_write_b128 v23, v[116:119] offset:1152
	ds_write_b128 v23, v[156:159] offset:1536
	;; [unrolled: 5-line block ×3, first 2 shown]
	s_waitcnt lgkmcnt(0)
	; wave barrier
	s_waitcnt lgkmcnt(0)
	ds_read_b128 v[200:203], v20
	ds_read_b128 v[196:199], v20 offset:896
	ds_read_b128 v[184:187], v20 offset:1920
	;; [unrolled: 1-line block ×13, first 2 shown]
	v_cmp_gt_u16_e64 s[2:3], 8, v22
                                        ; implicit-def: $vgpr160_vgpr161
	s_and_saveexec_b64 s[6:7], s[2:3]
	s_cbranch_execz .LBB0_17
; %bb.16:
	ds_read_b128 v[192:195], v20 offset:1792
	ds_read_b128 v[136:139], v20 offset:3712
	;; [unrolled: 1-line block ×7, first 2 shown]
.LBB0_17:
	s_or_b64 exec, exec, s[6:7]
	s_movk_i32 s6, 0x60
	v_mov_b64_e32 v[0:1], s[0:1]
	v_mad_u64_u32 v[18:19], s[6:7], v22, s6, v[0:1]
	global_load_dwordx4 v[140:143], v[18:19], off offset:1936
	global_load_dwordx4 v[144:147], v[18:19], off offset:1920
	;; [unrolled: 1-line block ×4, first 2 shown]
	s_mov_b64 s[6:7], 0x1500
	v_lshl_add_u64 v[28:29], v[18:19], 0, s[6:7]
	v_add_u32_e32 v17, -8, v22
	v_cndmask_b32_e64 v16, v17, v16, s[2:3]
	v_mul_hi_i32_i24_e32 v17, 0x60, v16
	v_mul_i32_i24_e32 v16, 0x60, v16
	s_mov_b32 s18, 0xe976ee23
	s_mov_b32 s6, 0x37e14327
	;; [unrolled: 1-line block ×18, first 2 shown]
	s_waitcnt vmcnt(3) lgkmcnt(5)
	v_mul_f64 v[12:13], v[154:155], v[142:143]
	s_waitcnt vmcnt(2)
	v_mul_f64 v[8:9], v[166:167], v[146:147]
	v_mul_f64 v[10:11], v[164:165], v[146:147]
	;; [unrolled: 1-line block ×3, first 2 shown]
	v_fma_f64 v[8:9], v[164:165], v[144:145], -v[8:9]
	v_fmac_f64_e32 v[10:11], v[166:167], v[144:145]
	v_fma_f64 v[12:13], v[152:153], v[140:141], -v[12:13]
	v_fmac_f64_e32 v[14:15], v[154:155], v[140:141]
	global_load_dwordx4 v[152:155], v[18:19], off offset:1968
	global_load_dwordx4 v[164:167], v[18:19], off offset:1952
	s_waitcnt vmcnt(2)
	v_mul_f64 v[0:1], v[186:187], v[158:159]
	v_mul_f64 v[2:3], v[184:185], v[158:159]
	;; [unrolled: 1-line block ×4, first 2 shown]
	v_fma_f64 v[0:1], v[184:185], v[156:157], -v[0:1]
	v_fmac_f64_e32 v[2:3], v[186:187], v[156:157]
	v_fma_f64 v[4:5], v[176:177], v[148:149], -v[4:5]
	v_fmac_f64_e32 v[6:7], v[178:179], v[148:149]
	v_add_f64 v[36:37], v[8:9], v[12:13]
	v_add_f64 v[8:9], v[12:13], -v[8:9]
	v_add_f64 v[38:39], v[10:11], v[14:15]
	v_add_f64 v[10:11], v[14:15], -v[10:11]
	s_waitcnt vmcnt(1) lgkmcnt(1)
	v_mul_f64 v[246:247], v[168:169], v[154:155]
	s_waitcnt vmcnt(0)
	v_mul_f64 v[26:27], v[174:175], v[166:167]
	v_fma_f64 v[220:221], v[172:173], v[164:165], -v[26:27]
	v_mul_f64 v[222:223], v[172:173], v[166:167]
	v_mul_f64 v[26:27], v[170:171], v[154:155]
	v_fmac_f64_e32 v[222:223], v[174:175], v[164:165]
	v_fma_f64 v[244:245], v[168:169], v[152:153], -v[26:27]
	v_fmac_f64_e32 v[246:247], v[170:171], v[152:153]
	global_load_dwordx4 v[168:171], v[28:29], off offset:1936
	global_load_dwordx4 v[172:175], v[28:29], off offset:1920
	;; [unrolled: 1-line block ×4, first 2 shown]
	v_add_f64 v[32:33], v[4:5], v[220:221]
	v_add_f64 v[34:35], v[6:7], v[222:223]
	v_add_f64 v[4:5], v[4:5], -v[220:221]
	v_add_f64 v[6:7], v[6:7], -v[222:223]
	v_add_f64 v[220:221], v[8:9], v[4:5]
	v_add_f64 v[222:223], v[10:11], v[6:7]
	v_add_f64 v[40:41], v[10:11], -v[6:7]
	v_mul_f64 v[40:41], v[40:41], s[18:19]
	s_waitcnt vmcnt(3)
	v_mul_f64 v[234:235], v[124:125], v[170:171]
	s_waitcnt vmcnt(2)
	;; [unrolled: 2-line block ×4, first 2 shown]
	v_mul_f64 v[18:19], v[190:191], v[186:187]
	v_mul_f64 v[26:27], v[188:189], v[186:187]
	;; [unrolled: 1-line block ×3, first 2 shown]
	v_fma_f64 v[18:19], v[188:189], v[184:185], -v[18:19]
	v_fmac_f64_e32 v[26:27], v[190:191], v[184:185]
	v_fma_f64 v[224:225], v[180:181], v[176:177], -v[30:31]
	v_fmac_f64_e32 v[226:227], v[182:183], v[176:177]
	global_load_dwordx4 v[180:183], v[28:29], off offset:1968
	global_load_dwordx4 v[188:191], v[28:29], off offset:1952
	v_mul_f64 v[30:31], v[134:135], v[174:175]
	v_fma_f64 v[228:229], v[132:133], v[172:173], -v[30:31]
	v_mul_f64 v[30:31], v[126:127], v[170:171]
	v_fmac_f64_e32 v[230:231], v[134:135], v[172:173]
	v_fma_f64 v[232:233], v[124:125], v[168:169], -v[30:31]
	v_fmac_f64_e32 v[234:235], v[126:127], v[168:169]
	s_waitcnt vmcnt(1) lgkmcnt(0)
	v_mul_f64 v[254:255], v[108:109], v[182:183]
	s_waitcnt vmcnt(0)
	v_mul_f64 v[28:29], v[118:119], v[190:191]
	v_fma_f64 v[248:249], v[116:117], v[188:189], -v[28:29]
	v_mul_f64 v[28:29], v[110:111], v[182:183]
	v_mul_f64 v[250:251], v[116:117], v[190:191]
	v_fma_f64 v[252:253], v[108:109], v[180:181], -v[28:29]
	v_lshl_add_u64 v[28:29], s[0:1], 0, v[16:17]
	v_fmac_f64_e32 v[250:251], v[118:119], v[188:189]
	v_fmac_f64_e32 v[254:255], v[110:111], v[180:181]
	global_load_dwordx4 v[108:111], v[28:29], off offset:1936
	global_load_dwordx4 v[116:119], v[28:29], off offset:1920
	;; [unrolled: 1-line block ×4, first 2 shown]
	s_mov_b32 s0, 0x36b3c0b5
	s_mov_b32 s1, 0x3fac98ee
	s_waitcnt vmcnt(1)
	v_mul_f64 v[30:31], v[162:163], v[126:127]
	s_waitcnt vmcnt(0)
	v_mul_f64 v[16:17], v[138:139], v[134:135]
	v_mul_f64 v[236:237], v[136:137], v[134:135]
	;; [unrolled: 1-line block ×3, first 2 shown]
	v_fma_f64 v[16:17], v[136:137], v[132:133], -v[16:17]
	v_fmac_f64_e32 v[236:237], v[138:139], v[132:133]
	v_fma_f64 v[238:239], v[160:161], v[124:125], -v[30:31]
	v_fmac_f64_e32 v[240:241], v[162:163], v[124:125]
	global_load_dwordx4 v[136:139], v[28:29], off offset:1968
	global_load_dwordx4 v[160:163], v[28:29], off offset:1952
	v_mul_f64 v[30:31], v[214:215], v[118:119]
	v_fma_f64 v[242:243], v[212:213], v[116:117], -v[30:31]
	v_mul_f64 v[212:213], v[212:213], v[118:119]
	v_mul_f64 v[30:31], v[218:219], v[110:111]
	v_fmac_f64_e32 v[212:213], v[214:215], v[116:117]
	v_fma_f64 v[214:215], v[216:217], v[108:109], -v[30:31]
	v_mul_f64 v[216:217], v[216:217], v[110:111]
	v_fmac_f64_e32 v[216:217], v[218:219], v[108:109]
	v_add_f64 v[30:31], v[2:3], v[246:247]
	v_add_f64 v[14:15], v[34:35], v[30:31]
	v_add_f64 v[2:3], v[2:3], -v[246:247]
	v_add_f64 v[246:247], v[8:9], -v[4:5]
	v_add_f64 v[14:15], v[38:39], v[14:15]
	v_add_f64 v[10:11], v[2:3], -v[10:11]
	v_add_f64 v[6:7], v[6:7], -v[2:3]
	v_add_f64 v[2:3], v[222:223], v[2:3]
	v_add_f64 v[222:223], v[202:203], v[14:15]
	v_mul_f64 v[42:43], v[246:247], s[18:19]
	v_mul_f64 v[202:203], v[6:7], s[16:17]
	v_fma_f64 v[202:203], v[10:11], s[30:31], -v[202:203]
	v_fmac_f64_e32 v[202:203], s[28:29], v[2:3]
	s_waitcnt vmcnt(0)
	v_mul_f64 v[28:29], v[206:207], v[162:163]
	v_fma_f64 v[218:219], v[204:205], v[160:161], -v[28:29]
	v_mul_f64 v[204:205], v[204:205], v[162:163]
	v_mul_f64 v[28:29], v[210:211], v[138:139]
	v_fmac_f64_e32 v[204:205], v[206:207], v[160:161]
	v_fma_f64 v[206:207], v[208:209], v[136:137], -v[28:29]
	v_add_f64 v[28:29], v[0:1], v[244:245]
	v_add_f64 v[12:13], v[32:33], v[28:29]
	v_add_f64 v[0:1], v[0:1], -v[244:245]
	v_add_f64 v[12:13], v[36:37], v[12:13]
	v_mul_f64 v[208:209], v[208:209], v[138:139]
	v_add_f64 v[8:9], v[0:1], -v[8:9]
	v_add_f64 v[4:5], v[4:5], -v[0:1]
	v_add_f64 v[0:1], v[220:221], v[0:1]
	v_add_f64 v[220:221], v[200:201], v[12:13]
	v_fmac_f64_e32 v[208:209], v[210:211], v[136:137]
	v_add_f64 v[210:211], v[32:33], -v[28:29]
	v_add_f64 v[244:245], v[34:35], -v[30:31]
	;; [unrolled: 1-line block ×6, first 2 shown]
	v_mov_b64_e32 v[246:247], v[220:221]
	v_mul_f64 v[28:29], v[28:29], s[6:7]
	v_mul_f64 v[30:31], v[30:31], s[6:7]
	;; [unrolled: 1-line block ×5, first 2 shown]
	v_fmac_f64_e32 v[246:247], s[20:21], v[12:13]
	v_mov_b64_e32 v[12:13], v[222:223]
	v_fmac_f64_e32 v[12:13], s[20:21], v[14:15]
	v_fma_f64 v[14:15], v[210:211], s[22:23], -v[36:37]
	v_fma_f64 v[36:37], v[244:245], s[22:23], -v[38:39]
	;; [unrolled: 1-line block ×3, first 2 shown]
	v_fmac_f64_e32 v[28:29], s[0:1], v[32:33]
	v_fma_f64 v[32:33], v[244:245], s[24:25], -v[30:31]
	v_fmac_f64_e32 v[30:31], s[0:1], v[34:35]
	v_fma_f64 v[34:35], v[4:5], s[16:17], -v[42:43]
	v_fma_f64 v[210:211], v[6:7], s[16:17], -v[40:41]
	;; [unrolled: 1-line block ×3, first 2 shown]
	v_fmac_f64_e32 v[42:43], s[26:27], v[8:9]
	v_add_f64 v[14:15], v[14:15], v[246:247]
	v_add_f64 v[36:37], v[36:37], v[12:13]
	;; [unrolled: 1-line block ×3, first 2 shown]
	v_fmac_f64_e32 v[34:35], s[28:29], v[0:1]
	v_fmac_f64_e32 v[210:211], s[28:29], v[2:3]
	;; [unrolled: 1-line block ×4, first 2 shown]
	v_add_f64 v[28:29], v[28:29], v[246:247]
	v_add_f64 v[30:31], v[30:31], v[12:13]
	;; [unrolled: 1-line block ×3, first 2 shown]
	v_fmac_f64_e32 v[42:43], s[28:29], v[0:1]
	v_add_f64 v[6:7], v[32:33], -v[200:201]
	v_add_f64 v[8:9], v[14:15], -v[210:211]
	v_add_f64 v[10:11], v[34:35], v[36:37]
	v_add_f64 v[12:13], v[210:211], v[14:15]
	v_add_f64 v[14:15], v[36:37], -v[34:35]
	v_add_f64 v[246:247], v[200:201], v[32:33]
	v_add_f64 v[32:33], v[18:19], v[252:253]
	;; [unrolled: 1-line block ×3, first 2 shown]
	v_fmac_f64_e32 v[40:41], s[28:29], v[2:3]
	v_add_f64 v[2:3], v[30:31], -v[42:43]
	v_add_f64 v[4:5], v[202:203], v[38:39]
	v_add_f64 v[244:245], v[38:39], -v[202:203]
	v_add_f64 v[30:31], v[42:43], v[30:31]
	v_add_f64 v[34:35], v[26:27], v[254:255]
	;; [unrolled: 1-line block ×3, first 2 shown]
	v_add_f64 v[42:43], v[226:227], -v[250:251]
	v_add_f64 v[200:201], v[228:229], v[232:233]
	v_add_f64 v[226:227], v[36:37], v[32:33]
	;; [unrolled: 1-line block ×3, first 2 shown]
	v_add_f64 v[28:29], v[28:29], -v[40:41]
	v_add_f64 v[26:27], v[26:27], -v[254:255]
	;; [unrolled: 1-line block ×3, first 2 shown]
	v_add_f64 v[202:203], v[230:231], v[234:235]
	v_add_f64 v[210:211], v[232:233], -v[228:229]
	v_add_f64 v[224:225], v[234:235], -v[230:231]
	v_add_f64 v[228:229], v[38:39], v[34:35]
	v_add_f64 v[230:231], v[36:37], -v[32:33]
	v_add_f64 v[32:33], v[32:33], -v[200:201]
	;; [unrolled: 1-line block ×3, first 2 shown]
	v_add_f64 v[200:201], v[200:201], v[226:227]
	v_add_f64 v[18:19], v[18:19], -v[252:253]
	v_add_f64 v[232:233], v[38:39], -v[34:35]
	;; [unrolled: 1-line block ×4, first 2 shown]
	v_add_f64 v[248:249], v[224:225], v[42:43]
	v_add_f64 v[252:253], v[224:225], -v[42:43]
	v_add_f64 v[254:255], v[26:27], -v[224:225]
	v_add_f64 v[202:203], v[202:203], v[228:229]
	v_add_f64 v[224:225], v[196:197], v[200:201]
	;; [unrolled: 1-line block ×3, first 2 shown]
	v_add_f64 v[250:251], v[210:211], -v[40:41]
	v_add_f64 v[40:41], v[40:41], -v[18:19]
	;; [unrolled: 1-line block ×3, first 2 shown]
	v_add_f64 v[26:27], v[248:249], v[26:27]
	v_add_f64 v[226:227], v[198:199], v[202:203]
	v_mov_b64_e32 v[248:249], v[224:225]
	v_add_f64 v[210:211], v[18:19], -v[210:211]
	v_mul_f64 v[32:33], v[32:33], s[6:7]
	v_mul_f64 v[34:35], v[34:35], s[6:7]
	;; [unrolled: 1-line block ×6, first 2 shown]
	v_fmac_f64_e32 v[248:249], s[20:21], v[200:201]
	v_mov_b64_e32 v[200:201], v[226:227]
	v_add_f64 v[18:19], v[234:235], v[18:19]
	v_mul_f64 v[196:197], v[36:37], s[0:1]
	v_mul_f64 v[234:235], v[42:43], s[16:17]
	v_fmac_f64_e32 v[200:201], s[20:21], v[202:203]
	v_fma_f64 v[198:199], v[232:233], s[22:23], -v[198:199]
	v_fma_f64 v[202:203], v[230:231], s[24:25], -v[32:33]
	v_fmac_f64_e32 v[32:33], s[0:1], v[36:37]
	v_fma_f64 v[36:37], v[232:233], s[24:25], -v[34:35]
	v_fmac_f64_e32 v[34:35], s[0:1], v[38:39]
	;; [unrolled: 2-line block ×3, first 2 shown]
	v_fma_f64 v[40:41], v[42:43], s[16:17], -v[46:47]
	v_fma_f64 v[42:43], v[210:211], s[30:31], -v[228:229]
	;; [unrolled: 1-line block ×3, first 2 shown]
	v_fmac_f64_e32 v[46:47], s[26:27], v[254:255]
	v_fma_f64 v[210:211], v[254:255], s[30:31], -v[234:235]
	v_add_f64 v[50:51], v[34:35], v[200:201]
	v_add_f64 v[34:35], v[198:199], v[200:201]
	v_add_f64 v[36:37], v[36:37], v[200:201]
	v_fmac_f64_e32 v[44:45], s[28:29], v[18:19]
	v_fmac_f64_e32 v[38:39], s[28:29], v[18:19]
	;; [unrolled: 1-line block ×3, first 2 shown]
	v_add_f64 v[48:49], v[32:33], v[248:249]
	v_add_f64 v[32:33], v[196:197], v[248:249]
	;; [unrolled: 1-line block ×3, first 2 shown]
	v_fmac_f64_e32 v[46:47], s[28:29], v[26:27]
	v_fmac_f64_e32 v[40:41], s[28:29], v[26:27]
	;; [unrolled: 1-line block ×3, first 2 shown]
	v_add_f64 v[230:231], v[50:51], -v[44:45]
	v_add_f64 v[234:235], v[36:37], -v[42:43]
	v_add_f64 v[250:251], v[38:39], v[34:35]
	v_add_f64 v[254:255], v[34:35], -v[38:39]
	v_add_f64 v[34:35], v[42:43], v[36:37]
	v_add_f64 v[38:39], v[44:45], v[50:51]
	;; [unrolled: 1-line block ×8, first 2 shown]
	v_add_f64 v[248:249], v[32:33], -v[40:41]
	v_add_f64 v[252:253], v[40:41], v[32:33]
	v_add_f64 v[32:33], v[196:197], -v[210:211]
	v_add_f64 v[36:37], v[48:49], -v[46:47]
	;; [unrolled: 1-line block ×6, first 2 shown]
	v_add_f64 v[50:51], v[242:243], v[214:215]
	v_add_f64 v[196:197], v[212:213], v[216:217]
	v_add_f64 v[198:199], v[214:215], -v[242:243]
	v_add_f64 v[200:201], v[216:217], -v[212:213]
	v_add_f64 v[202:203], v[42:43], v[18:19]
	v_add_f64 v[204:205], v[44:45], v[26:27]
	v_add_f64 v[206:207], v[42:43], -v[18:19]
	v_add_f64 v[208:209], v[44:45], -v[26:27]
	;; [unrolled: 1-line block ×6, first 2 shown]
	v_add_f64 v[210:211], v[198:199], v[46:47]
	v_add_f64 v[212:213], v[200:201], v[48:49]
	v_add_f64 v[216:217], v[198:199], -v[46:47]
	v_add_f64 v[218:219], v[200:201], -v[48:49]
	;; [unrolled: 1-line block ×4, first 2 shown]
	v_add_f64 v[50:51], v[50:51], v[202:203]
	v_add_f64 v[196:197], v[196:197], v[204:205]
	v_add_f64 v[198:199], v[16:17], -v[198:199]
	v_add_f64 v[200:201], v[40:41], -v[200:201]
	v_add_f64 v[16:17], v[210:211], v[16:17]
	v_add_f64 v[40:41], v[212:213], v[40:41]
	;; [unrolled: 1-line block ×4, first 2 shown]
	v_mul_f64 v[18:19], v[18:19], s[6:7]
	v_mul_f64 v[26:27], v[26:27], s[6:7]
	;; [unrolled: 1-line block ×8, first 2 shown]
	v_fma_f64 v[50:51], s[20:21], v[50:51], v[212:213]
	v_fma_f64 v[196:197], s[20:21], v[196:197], v[214:215]
	;; [unrolled: 1-line block ×3, first 2 shown]
	v_fma_f64 v[192:193], v[206:207], s[22:23], -v[192:193]
	v_fma_f64 v[194:195], v[208:209], s[22:23], -v[194:195]
	;; [unrolled: 1-line block ×4, first 2 shown]
	v_fmac_f64_e32 v[26:27], s[0:1], v[44:45]
	v_fma_f64 v[44:45], s[26:27], v[198:199], v[202:203]
	v_fma_f64 v[46:47], v[46:47], s[16:17], -v[202:203]
	v_fma_f64 v[48:49], v[48:49], s[16:17], -v[210:211]
	v_fmac_f64_e32 v[210:211], s[26:27], v[200:201]
	v_fma_f64 v[208:209], v[198:199], s[30:31], -v[204:205]
	v_fma_f64 v[204:205], v[200:201], s[30:31], -v[216:217]
	v_add_f64 v[42:43], v[42:43], v[50:51]
	v_add_f64 v[26:27], v[26:27], v[196:197]
	;; [unrolled: 1-line block ×6, first 2 shown]
	v_fmac_f64_e32 v[44:45], s[28:29], v[16:17]
	v_fmac_f64_e32 v[210:211], s[28:29], v[40:41]
	;; [unrolled: 1-line block ×6, first 2 shown]
	v_add_f64 v[216:217], v[210:211], v[42:43]
	v_add_f64 v[218:219], v[26:27], -v[44:45]
	v_add_f64 v[192:193], v[204:205], v[18:19]
	v_add_f64 v[194:195], v[50:51], -v[208:209]
	v_add_f64 v[196:197], v[200:201], -v[48:49]
	v_add_f64 v[198:199], v[46:47], v[202:203]
	v_add_f64 v[200:201], v[48:49], v[200:201]
	v_add_f64 v[202:203], v[202:203], -v[46:47]
	v_add_f64 v[204:205], v[18:19], -v[204:205]
	v_add_f64 v[206:207], v[208:209], v[50:51]
	v_add_f64 v[208:209], v[42:43], -v[210:211]
	v_add_f64 v[210:211], v[44:45], v[26:27]
	ds_write_b128 v20, v[220:223]
	ds_write_b128 v20, v[0:3] offset:1920
	ds_write_b128 v20, v[4:7] offset:3840
	ds_write_b128 v20, v[8:11] offset:5760
	ds_write_b128 v20, v[12:15] offset:7680
	ds_write_b128 v20, v[244:247] offset:9600
	ds_write_b128 v20, v[28:31] offset:11520
	ds_write_b128 v20, v[224:227] offset:896
	ds_write_b128 v20, v[228:231] offset:2816
	ds_write_b128 v20, v[232:235] offset:4736
	ds_write_b128 v20, v[248:251] offset:6656
	ds_write_b128 v20, v[252:255] offset:8576
	ds_write_b128 v20, v[32:35] offset:10496
	ds_write_b128 v20, v[36:39] offset:12416
	s_and_saveexec_b64 s[0:1], s[2:3]
	s_cbranch_execz .LBB0_19
; %bb.18:
	ds_write_b128 v20, v[212:215] offset:1792
	ds_write_b128 v20, v[216:219] offset:3712
	;; [unrolled: 1-line block ×7, first 2 shown]
.LBB0_19:
	s_or_b64 exec, exec, s[0:1]
	v_lshlrev_b32_e32 v0, 4, v22
	v_mov_b32_e32 v1, 0
	v_lshl_add_u64 v[2:3], s[14:15], 0, v[0:1]
	s_movk_i32 s6, 0x3000
	v_add_co_u32_e32 v8, vcc, s6, v2
	s_waitcnt lgkmcnt(0)
	s_nop 0
	v_addc_co_u32_e32 v9, vcc, 0, v3, vcc
	; wave barrier
	global_load_dwordx4 v[8:11], v[8:9], off offset:1152
	ds_read_b128 v[4:7], v20
	ds_read_b128 v[220:223], v20 offset:12096
	s_mov_b64 s[0:1], 0x3480
	v_lshl_add_u64 v[0:1], v[2:3], 0, s[0:1]
	s_movk_i32 s0, 0x4000
	s_waitcnt vmcnt(0) lgkmcnt(1)
	v_mul_f64 v[12:13], v[6:7], v[10:11]
	v_fma_f64 v[12:13], v[4:5], v[8:9], -v[12:13]
	v_mul_f64 v[14:15], v[4:5], v[10:11]
	v_add_co_u32_e32 v4, vcc, s0, v2
	v_fmac_f64_e32 v[14:15], v[6:7], v[8:9]
	s_nop 0
	v_addc_co_u32_e32 v5, vcc, 0, v3, vcc
	ds_write_b128 v20, v[12:15]
	global_load_dwordx4 v[10:13], v[4:5], off offset:3776
	ds_read_b128 v[6:9], v20 offset:6720
	s_movk_i32 s0, 0x5000
	s_waitcnt vmcnt(0) lgkmcnt(0)
	v_mul_f64 v[14:15], v[8:9], v[12:13]
	v_mul_f64 v[16:17], v[6:7], v[12:13]
	v_fma_f64 v[14:15], v[6:7], v[10:11], -v[14:15]
	v_fmac_f64_e32 v[16:17], v[8:9], v[10:11]
	global_load_dwordx4 v[10:13], v[0:1], off offset:896
	ds_read_b128 v[6:9], v20 offset:896
	ds_write_b128 v20, v[14:17] offset:6720
	s_waitcnt vmcnt(0) lgkmcnt(1)
	v_mul_f64 v[14:15], v[8:9], v[12:13]
	v_fma_f64 v[14:15], v[6:7], v[10:11], -v[14:15]
	v_mul_f64 v[16:17], v[6:7], v[12:13]
	v_add_co_u32_e32 v6, vcc, s0, v2
	v_fmac_f64_e32 v[16:17], v[8:9], v[10:11]
	s_nop 0
	v_addc_co_u32_e32 v7, vcc, 0, v3, vcc
	ds_write_b128 v20, v[14:17] offset:896
	global_load_dwordx4 v[12:15], v[6:7], off offset:576
	ds_read_b128 v[8:11], v20 offset:7616
	s_movk_i32 s0, 0x6000
	s_waitcnt vmcnt(0) lgkmcnt(0)
	v_mul_f64 v[16:17], v[10:11], v[14:15]
	v_mul_f64 v[18:19], v[8:9], v[14:15]
	v_fma_f64 v[16:17], v[8:9], v[12:13], -v[16:17]
	v_fmac_f64_e32 v[18:19], v[10:11], v[12:13]
	global_load_dwordx4 v[12:15], v[0:1], off offset:1792
	ds_read_b128 v[8:11], v20 offset:1792
	ds_write_b128 v20, v[16:19] offset:7616
	s_waitcnt vmcnt(0) lgkmcnt(1)
	v_mul_f64 v[16:17], v[10:11], v[14:15]
	v_mul_f64 v[18:19], v[8:9], v[14:15]
	v_fma_f64 v[16:17], v[8:9], v[12:13], -v[16:17]
	v_fmac_f64_e32 v[18:19], v[10:11], v[12:13]
	global_load_dwordx4 v[12:15], v[6:7], off offset:1472
	ds_read_b128 v[8:11], v20 offset:8512
	ds_write_b128 v20, v[16:19] offset:1792
	;; [unrolled: 8-line block ×6, first 2 shown]
	v_add_co_u32_e32 v18, vcc, s0, v2
	s_waitcnt vmcnt(0) lgkmcnt(1)
	v_mul_f64 v[6:7], v[10:11], v[14:15]
	v_fma_f64 v[6:7], v[8:9], v[12:13], -v[6:7]
	v_mul_f64 v[8:9], v[8:9], v[14:15]
	v_fmac_f64_e32 v[8:9], v[10:11], v[12:13]
	global_load_dwordx4 v[10:13], v[4:5], off offset:1536
	ds_write_b128 v20, v[6:9] offset:10304
	ds_read_b128 v[6:9], v20 offset:4480
	v_addc_co_u32_e32 v19, vcc, 0, v3, vcc
	s_waitcnt vmcnt(0) lgkmcnt(0)
	v_mul_f64 v[14:15], v[8:9], v[12:13]
	v_mul_f64 v[16:17], v[6:7], v[12:13]
	v_fma_f64 v[14:15], v[6:7], v[10:11], -v[14:15]
	v_fmac_f64_e32 v[16:17], v[8:9], v[10:11]
	global_load_dwordx4 v[10:13], v[18:19], off offset:64
	ds_read_b128 v[6:9], v20 offset:11200
	ds_write_b128 v20, v[14:17] offset:4480
	s_waitcnt vmcnt(0) lgkmcnt(1)
	v_mul_f64 v[2:3], v[8:9], v[12:13]
	v_fma_f64 v[14:15], v[6:7], v[10:11], -v[2:3]
	global_load_dwordx4 v[2:5], v[4:5], off offset:2432
	v_mul_f64 v[16:17], v[6:7], v[12:13]
	v_fmac_f64_e32 v[16:17], v[8:9], v[10:11]
	ds_read_b128 v[6:9], v20 offset:5376
	ds_write_b128 v20, v[14:17] offset:11200
	s_waitcnt vmcnt(0) lgkmcnt(1)
	v_mul_f64 v[10:11], v[8:9], v[4:5]
	v_mul_f64 v[12:13], v[6:7], v[4:5]
	v_fma_f64 v[10:11], v[6:7], v[2:3], -v[10:11]
	v_fmac_f64_e32 v[12:13], v[8:9], v[2:3]
	global_load_dwordx4 v[2:5], v[18:19], off offset:960
	ds_write_b128 v20, v[10:13] offset:5376
	s_waitcnt vmcnt(0)
	v_mul_f64 v[6:7], v[222:223], v[4:5]
	v_mul_f64 v[8:9], v[220:221], v[4:5]
	v_fma_f64 v[6:7], v[220:221], v[2:3], -v[6:7]
	v_fmac_f64_e32 v[8:9], v[222:223], v[2:3]
	ds_write_b128 v20, v[6:9] offset:12096
	s_and_saveexec_b64 s[0:1], s[4:5]
	s_cbranch_execz .LBB0_21
; %bb.20:
	v_add_co_u32_e32 v6, vcc, 0x1000, v0
	ds_read_b128 v[2:5], v20 offset:6272
	s_nop 0
	v_addc_co_u32_e32 v7, vcc, 0, v1, vcc
	global_load_dwordx4 v[6:9], v[6:7], off offset:2176
	v_add_co_u32_e32 v0, vcc, s6, v0
	s_waitcnt vmcnt(0) lgkmcnt(0)
	v_mul_f64 v[10:11], v[4:5], v[8:9]
	v_mul_f64 v[12:13], v[2:3], v[8:9]
	v_addc_co_u32_e32 v1, vcc, 0, v1, vcc
	v_fma_f64 v[10:11], v[2:3], v[6:7], -v[10:11]
	v_fmac_f64_e32 v[12:13], v[4:5], v[6:7]
	global_load_dwordx4 v[6:9], v[0:1], off offset:704
	ds_read_b128 v[2:5], v20 offset:12992
	ds_write_b128 v20, v[10:13] offset:6272
	s_waitcnt vmcnt(0) lgkmcnt(1)
	v_mul_f64 v[0:1], v[4:5], v[8:9]
	v_fma_f64 v[0:1], v[2:3], v[6:7], -v[0:1]
	v_mul_f64 v[2:3], v[2:3], v[8:9]
	v_fmac_f64_e32 v[2:3], v[4:5], v[6:7]
	ds_write_b128 v20, v[0:3] offset:12992
.LBB0_21:
	s_or_b64 exec, exec, s[0:1]
	s_waitcnt lgkmcnt(0)
	; wave barrier
	s_waitcnt lgkmcnt(0)
	ds_read_b128 v[12:15], v20
	ds_read_b128 v[4:7], v20 offset:896
	ds_read_b128 v[8:11], v20 offset:7616
	;; [unrolled: 1-line block ×13, first 2 shown]
	s_and_saveexec_b64 s[0:1], s[4:5]
	s_cbranch_execz .LBB0_23
; %bb.22:
	ds_read_b128 v[212:215], v20 offset:6272
	ds_read_b128 v[216:219], v20 offset:12992
.LBB0_23:
	s_or_b64 exec, exec, s[0:1]
	s_waitcnt lgkmcnt(3)
	v_add_f64 v[16:17], v[12:13], -v[16:17]
	v_add_f64 v[18:19], v[14:15], -v[18:19]
	v_fma_f64 v[12:13], v[12:13], 2.0, -v[16:17]
	v_fma_f64 v[14:15], v[14:15], 2.0, -v[18:19]
	v_add_f64 v[8:9], v[4:5], -v[8:9]
	v_add_f64 v[10:11], v[6:7], -v[10:11]
	v_accvgpr_read_b32 v38, a57
	v_fma_f64 v[4:5], v[4:5], 2.0, -v[8:9]
	v_fma_f64 v[6:7], v[6:7], 2.0, -v[10:11]
	v_add_f64 v[0:1], v[252:253], -v[0:1]
	v_add_f64 v[2:3], v[254:255], -v[2:3]
	s_waitcnt lgkmcnt(0)
	; wave barrier
	s_waitcnt lgkmcnt(0)
	ds_write_b128 v38, v[12:15]
	ds_write_b128 v38, v[16:19] offset:16
	v_accvgpr_read_b32 v12, a59
	v_fma_f64 v[26:27], v[252:253], 2.0, -v[0:1]
	v_fma_f64 v[28:29], v[254:255], 2.0, -v[2:3]
	v_add_f64 v[30:31], v[244:245], -v[248:249]
	v_add_f64 v[32:33], v[246:247], -v[250:251]
	ds_write_b128 v12, v[4:7]
	ds_write_b128 v12, v[8:11] offset:16
	v_accvgpr_read_b32 v4, a60
	v_fma_f64 v[34:35], v[244:245], 2.0, -v[30:31]
	v_fma_f64 v[36:37], v[246:247], 2.0, -v[32:33]
	v_add_f64 v[240:241], v[236:237], -v[240:241]
	v_add_f64 v[242:243], v[238:239], -v[242:243]
	;; [unrolled: 7-line block ×4, first 2 shown]
	v_add_f64 v[216:217], v[212:213], -v[216:217]
	v_add_f64 v[218:219], v[214:215], -v[218:219]
	ds_write_b128 v0, v[236:239]
	ds_write_b128 v0, v[240:243] offset:16
	v_accvgpr_read_b32 v0, a63
	v_fma_f64 v[220:221], v[220:221], 2.0, -v[224:225]
	v_fma_f64 v[222:223], v[222:223], 2.0, -v[226:227]
	;; [unrolled: 1-line block ×4, first 2 shown]
	ds_write_b128 v0, v[228:231]
	ds_write_b128 v0, v[232:235] offset:16
	v_accvgpr_read_b32 v0, a64
	ds_write_b128 v0, v[220:223]
	ds_write_b128 v0, v[224:227] offset:16
	s_and_saveexec_b64 s[0:1], s[4:5]
	s_cbranch_execz .LBB0_25
; %bb.24:
	v_accvgpr_read_b32 v0, a58
	ds_write_b128 v0, v[212:215]
	ds_write_b128 v0, v[216:219] offset:16
.LBB0_25:
	s_or_b64 exec, exec, s[0:1]
	s_waitcnt lgkmcnt(0)
	; wave barrier
	s_waitcnt lgkmcnt(0)
	ds_read_b128 v[244:247], v20
	ds_read_b128 v[240:243], v20 offset:896
	ds_read_b128 v[252:255], v20 offset:7616
	ds_read_b128 v[12:15], v20 offset:8512
	ds_read_b128 v[236:239], v20 offset:1792
	ds_read_b128 v[232:235], v20 offset:2688
	ds_read_b128 v[8:11], v20 offset:9408
	ds_read_b128 v[4:7], v20 offset:10304
	ds_read_b128 v[228:231], v20 offset:3584
	ds_read_b128 v[224:227], v20 offset:4480
	ds_read_b128 v[16:19], v20 offset:6720
	ds_read_b128 v[220:223], v20 offset:5376
	ds_read_b128 v[248:251], v20 offset:11200
	ds_read_b128 v[0:3], v20 offset:12096
	s_and_saveexec_b64 s[0:1], s[4:5]
	s_cbranch_execz .LBB0_27
; %bb.26:
	ds_read_b128 v[212:215], v20 offset:6272
	ds_read_b128 v[216:219], v20 offset:12992
.LBB0_27:
	s_or_b64 exec, exec, s[0:1]
	s_waitcnt lgkmcnt(3)
	v_mul_f64 v[26:27], v[58:59], v[18:19]
	s_waitcnt lgkmcnt(0)
	v_mul_f64 v[46:47], v[58:59], v[2:3]
	v_fmac_f64_e32 v[26:27], v[56:57], v[16:17]
	v_mul_f64 v[16:17], v[58:59], v[16:17]
	v_mul_f64 v[38:39], v[58:59], v[6:7]
	v_fmac_f64_e32 v[46:47], v[56:57], v[0:1]
	v_mul_f64 v[0:1], v[58:59], v[0:1]
	v_fma_f64 v[16:17], v[56:57], v[18:19], -v[16:17]
	v_mul_f64 v[18:19], v[58:59], v[254:255]
	v_mul_f64 v[28:29], v[58:59], v[252:253]
	;; [unrolled: 1-line block ×4, first 2 shown]
	v_fmac_f64_e32 v[38:39], v[56:57], v[4:5]
	v_mul_f64 v[4:5], v[58:59], v[4:5]
	v_fma_f64 v[48:49], v[56:57], v[2:3], -v[0:1]
	v_mul_f64 v[0:1], v[58:59], v[216:217]
	v_fmac_f64_e32 v[18:19], v[56:57], v[252:253]
	v_fma_f64 v[28:29], v[56:57], v[254:255], -v[28:29]
	v_fmac_f64_e32 v[30:31], v[56:57], v[12:13]
	v_mul_f64 v[12:13], v[58:59], v[12:13]
	v_fmac_f64_e32 v[34:35], v[56:57], v[8:9]
	v_mul_f64 v[8:9], v[58:59], v[8:9]
	v_fma_f64 v[40:41], v[56:57], v[6:7], -v[4:5]
	v_mul_f64 v[42:43], v[58:59], v[250:251]
	v_mul_f64 v[4:5], v[58:59], v[248:249]
	;; [unrolled: 1-line block ×3, first 2 shown]
	v_fma_f64 v[58:59], v[56:57], v[218:219], -v[0:1]
	v_add_f64 v[0:1], v[244:245], -v[26:27]
	v_add_f64 v[2:3], v[246:247], -v[16:17]
	v_fma_f64 v[32:33], v[56:57], v[14:15], -v[12:13]
	v_fma_f64 v[36:37], v[56:57], v[10:11], -v[8:9]
	;; [unrolled: 1-line block ×3, first 2 shown]
	v_fmac_f64_e32 v[50:51], v[56:57], v[216:217]
	v_fma_f64 v[4:5], v[244:245], 2.0, -v[0:1]
	v_fma_f64 v[6:7], v[246:247], 2.0, -v[2:3]
	v_add_f64 v[8:9], v[240:241], -v[18:19]
	v_add_f64 v[10:11], v[242:243], -v[28:29]
	;; [unrolled: 1-line block ×3, first 2 shown]
	v_accvgpr_read_b32 v38, a65
	v_fma_f64 v[12:13], v[240:241], 2.0, -v[8:9]
	v_fma_f64 v[14:15], v[242:243], 2.0, -v[10:11]
	v_add_f64 v[16:17], v[236:237], -v[30:31]
	v_add_f64 v[18:19], v[238:239], -v[32:33]
	s_waitcnt lgkmcnt(0)
	; wave barrier
	ds_write_b128 v38, v[4:7]
	ds_write_b128 v38, v[0:3] offset:32
	v_accvgpr_read_b32 v0, a66
	v_fma_f64 v[26:27], v[236:237], 2.0, -v[16:17]
	v_fma_f64 v[28:29], v[238:239], 2.0, -v[18:19]
	v_add_f64 v[30:31], v[232:233], -v[34:35]
	v_add_f64 v[32:33], v[234:235], -v[36:37]
	ds_write_b128 v0, v[12:15]
	ds_write_b128 v0, v[8:11] offset:32
	v_accvgpr_read_b32 v0, a67
	v_fmac_f64_e32 v[42:43], v[56:57], v[248:249]
	v_fma_f64 v[34:35], v[232:233], 2.0, -v[30:31]
	v_fma_f64 v[36:37], v[234:235], 2.0, -v[32:33]
	v_add_f64 v[218:219], v[230:231], -v[40:41]
	ds_write_b128 v0, v[26:29]
	ds_write_b128 v0, v[16:19] offset:32
	v_accvgpr_read_b32 v0, a68
	v_fma_f64 v[228:229], v[228:229], 2.0, -v[216:217]
	v_fma_f64 v[230:231], v[230:231], 2.0, -v[218:219]
	v_add_f64 v[232:233], v[224:225], -v[42:43]
	v_add_f64 v[234:235], v[226:227], -v[44:45]
	ds_write_b128 v0, v[34:37]
	ds_write_b128 v0, v[30:33] offset:32
	v_accvgpr_read_b32 v0, a69
	v_fma_f64 v[224:225], v[224:225], 2.0, -v[232:233]
	v_fma_f64 v[226:227], v[226:227], 2.0, -v[234:235]
	v_add_f64 v[236:237], v[220:221], -v[46:47]
	v_add_f64 v[238:239], v[222:223], -v[48:49]
	;; [unrolled: 1-line block ×4, first 2 shown]
	ds_write_b128 v0, v[228:231]
	ds_write_b128 v0, v[216:219] offset:32
	v_accvgpr_read_b32 v0, a70
	v_fma_f64 v[220:221], v[220:221], 2.0, -v[236:237]
	v_fma_f64 v[222:223], v[222:223], 2.0, -v[238:239]
	;; [unrolled: 1-line block ×4, first 2 shown]
	ds_write_b128 v0, v[224:227]
	ds_write_b128 v0, v[232:235] offset:32
	v_accvgpr_read_b32 v0, a71
	ds_write_b128 v0, v[220:223]
	ds_write_b128 v0, v[236:239] offset:32
	s_and_saveexec_b64 s[0:1], s[4:5]
	s_cbranch_execz .LBB0_29
; %bb.28:
	s_movk_i32 s6, 0x37c
	v_accvgpr_read_b32 v0, a54
	v_accvgpr_read_b32 v1, a55
	v_and_or_b32 v0, v0, s6, v1
	v_lshlrev_b32_e32 v0, 4, v0
	ds_write_b128 v0, v[212:215]
	ds_write_b128 v0, v[56:59] offset:32
.LBB0_29:
	s_or_b64 exec, exec, s[0:1]
	s_waitcnt lgkmcnt(0)
	; wave barrier
	s_waitcnt lgkmcnt(0)
	ds_read_b128 v[240:243], v20
	ds_read_b128 v[236:239], v20 offset:896
	ds_read_b128 v[248:251], v20 offset:7616
	;; [unrolled: 1-line block ×13, first 2 shown]
	s_and_saveexec_b64 s[0:1], s[4:5]
	s_cbranch_execz .LBB0_31
; %bb.30:
	ds_read_b128 v[212:215], v20 offset:6272
	ds_read_b128 v[56:59], v20 offset:12992
.LBB0_31:
	s_or_b64 exec, exec, s[0:1]
	s_waitcnt lgkmcnt(3)
	v_mul_f64 v[26:27], v[62:63], v[18:19]
	s_waitcnt lgkmcnt(0)
	v_mul_f64 v[46:47], v[62:63], v[2:3]
	v_fmac_f64_e32 v[26:27], v[60:61], v[16:17]
	v_mul_f64 v[16:17], v[62:63], v[16:17]
	v_mul_f64 v[38:39], v[62:63], v[6:7]
	v_fmac_f64_e32 v[46:47], v[60:61], v[0:1]
	v_mul_f64 v[0:1], v[62:63], v[0:1]
	v_fma_f64 v[16:17], v[60:61], v[18:19], -v[16:17]
	v_mul_f64 v[18:19], v[62:63], v[250:251]
	v_mul_f64 v[28:29], v[62:63], v[248:249]
	;; [unrolled: 1-line block ×4, first 2 shown]
	v_fmac_f64_e32 v[38:39], v[60:61], v[4:5]
	v_mul_f64 v[4:5], v[62:63], v[4:5]
	v_fma_f64 v[48:49], v[60:61], v[2:3], -v[0:1]
	v_mul_f64 v[0:1], v[62:63], v[56:57]
	v_fmac_f64_e32 v[18:19], v[60:61], v[248:249]
	v_fma_f64 v[28:29], v[60:61], v[250:251], -v[28:29]
	v_fmac_f64_e32 v[30:31], v[60:61], v[12:13]
	v_mul_f64 v[12:13], v[62:63], v[12:13]
	v_fmac_f64_e32 v[34:35], v[60:61], v[8:9]
	v_mul_f64 v[8:9], v[62:63], v[8:9]
	v_fma_f64 v[40:41], v[60:61], v[6:7], -v[4:5]
	v_mul_f64 v[42:43], v[62:63], v[246:247]
	v_mul_f64 v[4:5], v[62:63], v[244:245]
	;; [unrolled: 1-line block ×3, first 2 shown]
	v_fma_f64 v[58:59], v[60:61], v[58:59], -v[0:1]
	v_add_f64 v[0:1], v[240:241], -v[26:27]
	v_add_f64 v[2:3], v[242:243], -v[16:17]
	v_fma_f64 v[32:33], v[60:61], v[14:15], -v[12:13]
	v_fma_f64 v[36:37], v[60:61], v[10:11], -v[8:9]
	v_fmac_f64_e32 v[42:43], v[60:61], v[244:245]
	v_fma_f64 v[44:45], v[60:61], v[246:247], -v[4:5]
	v_fmac_f64_e32 v[50:51], v[60:61], v[56:57]
	v_fma_f64 v[4:5], v[240:241], 2.0, -v[0:1]
	v_fma_f64 v[6:7], v[242:243], 2.0, -v[2:3]
	v_add_f64 v[8:9], v[236:237], -v[18:19]
	v_add_f64 v[10:11], v[238:239], -v[28:29]
	;; [unrolled: 1-line block ×3, first 2 shown]
	v_accvgpr_read_b32 v38, a72
	v_fma_f64 v[12:13], v[236:237], 2.0, -v[8:9]
	v_fma_f64 v[14:15], v[238:239], 2.0, -v[10:11]
	v_add_f64 v[16:17], v[232:233], -v[30:31]
	v_add_f64 v[18:19], v[234:235], -v[32:33]
	s_waitcnt lgkmcnt(0)
	; wave barrier
	ds_write_b128 v38, v[4:7]
	ds_write_b128 v38, v[0:3] offset:64
	v_accvgpr_read_b32 v0, a73
	v_fma_f64 v[26:27], v[232:233], 2.0, -v[16:17]
	v_fma_f64 v[28:29], v[234:235], 2.0, -v[18:19]
	v_add_f64 v[30:31], v[228:229], -v[34:35]
	v_add_f64 v[32:33], v[230:231], -v[36:37]
	ds_write_b128 v0, v[12:15]
	ds_write_b128 v0, v[8:11] offset:64
	v_accvgpr_read_b32 v0, a75
	v_fma_f64 v[34:35], v[228:229], 2.0, -v[30:31]
	v_fma_f64 v[36:37], v[230:231], 2.0, -v[32:33]
	v_add_f64 v[62:63], v[226:227], -v[40:41]
	ds_write_b128 v0, v[26:29]
	ds_write_b128 v0, v[16:19] offset:64
	v_accvgpr_read_b32 v0, a74
	v_fma_f64 v[224:225], v[224:225], 2.0, -v[60:61]
	v_fma_f64 v[226:227], v[226:227], 2.0, -v[62:63]
	v_add_f64 v[228:229], v[220:221], -v[42:43]
	v_add_f64 v[230:231], v[222:223], -v[44:45]
	ds_write_b128 v0, v[34:37]
	ds_write_b128 v0, v[30:33] offset:64
	v_accvgpr_read_b32 v0, a76
	v_fma_f64 v[220:221], v[220:221], 2.0, -v[228:229]
	v_fma_f64 v[222:223], v[222:223], 2.0, -v[230:231]
	v_add_f64 v[232:233], v[216:217], -v[46:47]
	;; [unrolled: 7-line block ×3, first 2 shown]
	v_add_f64 v[58:59], v[214:215], -v[58:59]
	ds_write_b128 v0, v[220:223]
	ds_write_b128 v0, v[228:231] offset:64
	v_accvgpr_read_b32 v0, a78
	ds_write_b128 v0, v[216:219]
	ds_write_b128 v0, v[232:235] offset:64
	s_and_saveexec_b64 s[0:1], s[4:5]
	s_cbranch_execz .LBB0_33
; %bb.32:
	s_movk_i32 s6, 0x378
	v_accvgpr_read_b32 v4, a54
	v_accvgpr_read_b32 v5, a56
	v_and_or_b32 v4, v4, s6, v5
	v_fma_f64 v[2:3], v[214:215], 2.0, -v[58:59]
	v_fma_f64 v[0:1], v[212:213], 2.0, -v[56:57]
	v_lshlrev_b32_e32 v4, 4, v4
	ds_write_b128 v4, v[0:3]
	ds_write_b128 v4, v[56:59] offset:64
.LBB0_33:
	s_or_b64 exec, exec, s[0:1]
	s_waitcnt lgkmcnt(0)
	; wave barrier
	s_waitcnt lgkmcnt(0)
	ds_read_b128 v[60:63], v20
	ds_read_b128 v[212:215], v20 offset:896
	ds_read_b128 v[0:3], v20 offset:8960
	ds_read_b128 v[4:7], v20 offset:9856
	ds_read_b128 v[8:11], v20 offset:5376
	ds_read_b128 v[12:15], v20 offset:6272
	ds_read_b128 v[216:219], v20 offset:1792
	ds_read_b128 v[220:223], v20 offset:2688
	ds_read_b128 v[16:19], v20 offset:10752
	ds_read_b128 v[26:29], v20 offset:11648
	ds_read_b128 v[30:33], v20 offset:4480
	ds_read_b128 v[224:227], v20 offset:3584
	ds_read_b128 v[34:37], v20 offset:7168
	ds_read_b128 v[228:231], v20 offset:8064
	ds_read_b128 v[232:235], v20 offset:12544
	s_waitcnt lgkmcnt(4)
	v_mul_f64 v[38:39], v[70:71], v[32:33]
	v_fmac_f64_e32 v[38:39], v[68:69], v[30:31]
	v_mul_f64 v[30:31], v[70:71], v[30:31]
	v_fma_f64 v[30:31], v[68:69], v[32:33], -v[30:31]
	v_mul_f64 v[32:33], v[66:67], v[2:3]
	v_fmac_f64_e32 v[32:33], v[64:65], v[0:1]
	v_mul_f64 v[0:1], v[66:67], v[0:1]
	v_fma_f64 v[40:41], v[64:65], v[2:3], -v[0:1]
	v_mul_f64 v[0:1], v[70:71], v[8:9]
	v_fma_f64 v[44:45], v[68:69], v[10:11], -v[0:1]
	;; [unrolled: 2-line block ×5, first 2 shown]
	s_waitcnt lgkmcnt(2)
	v_mul_f64 v[0:1], v[70:71], v[34:35]
	v_mul_f64 v[242:243], v[70:71], v[36:37]
	v_fma_f64 v[36:37], v[68:69], v[36:37], -v[0:1]
	v_mul_f64 v[0:1], v[66:67], v[26:27]
	v_fma_f64 v[246:247], v[64:65], v[28:29], -v[0:1]
	s_waitcnt lgkmcnt(1)
	v_mul_f64 v[0:1], v[70:71], v[228:229]
	v_mul_f64 v[42:43], v[70:71], v[10:11]
	v_mul_f64 v[46:47], v[66:67], v[6:7]
	v_mul_f64 v[50:51], v[70:71], v[14:15]
	v_mul_f64 v[248:249], v[70:71], v[230:231]
	v_fma_f64 v[70:71], v[68:69], v[230:231], -v[0:1]
	s_waitcnt lgkmcnt(0)
	v_mul_f64 v[0:1], v[66:67], v[232:233]
	v_add_f64 v[2:3], v[38:39], v[32:33]
	s_mov_b32 s0, 0xe8584caa
	v_fmac_f64_e32 v[42:43], v[68:69], v[8:9]
	v_fmac_f64_e32 v[46:47], v[64:65], v[4:5]
	v_fma_f64 v[230:231], v[64:65], v[234:235], -v[0:1]
	v_add_f64 v[0:1], v[60:61], v[38:39]
	v_fmac_f64_e32 v[60:61], -0.5, v[2:3]
	v_add_f64 v[2:3], v[30:31], -v[40:41]
	s_mov_b32 s1, 0xbfebb67a
	s_mov_b32 s7, 0x3febb67a
	;; [unrolled: 1-line block ×3, first 2 shown]
	v_add_f64 v[6:7], v[30:31], v[40:41]
	v_mul_f64 v[238:239], v[66:67], v[18:19]
	v_fma_f64 v[4:5], s[0:1], v[2:3], v[60:61]
	v_fmac_f64_e32 v[60:61], s[6:7], v[2:3]
	v_add_f64 v[2:3], v[62:63], v[30:31]
	v_fmac_f64_e32 v[62:63], -0.5, v[6:7]
	v_add_f64 v[8:9], v[38:39], -v[32:33]
	v_add_f64 v[10:11], v[42:43], v[46:47]
	v_fmac_f64_e32 v[50:51], v[68:69], v[12:13]
	v_fmac_f64_e32 v[238:239], v[64:65], v[16:17]
	v_fma_f64 v[6:7], s[6:7], v[8:9], v[62:63]
	v_fmac_f64_e32 v[62:63], s[0:1], v[8:9]
	v_add_f64 v[8:9], v[212:213], v[42:43]
	v_fmac_f64_e32 v[212:213], -0.5, v[10:11]
	v_add_f64 v[10:11], v[44:45], -v[48:49]
	v_add_f64 v[14:15], v[44:45], v[48:49]
	v_mul_f64 v[244:245], v[66:67], v[28:29]
	v_fma_f64 v[12:13], s[0:1], v[10:11], v[212:213]
	v_fmac_f64_e32 v[212:213], s[6:7], v[10:11]
	v_add_f64 v[10:11], v[214:215], v[44:45]
	v_fmac_f64_e32 v[214:215], -0.5, v[14:15]
	v_add_f64 v[16:17], v[42:43], -v[46:47]
	v_add_f64 v[18:19], v[50:51], v[238:239]
	v_fmac_f64_e32 v[242:243], v[68:69], v[34:35]
	v_fmac_f64_e32 v[244:245], v[64:65], v[26:27]
	v_fma_f64 v[14:15], s[6:7], v[16:17], v[214:215]
	v_fmac_f64_e32 v[214:215], s[0:1], v[16:17]
	v_add_f64 v[16:17], v[216:217], v[50:51]
	v_fmac_f64_e32 v[216:217], -0.5, v[18:19]
	v_add_f64 v[18:19], v[236:237], -v[240:241]
	v_add_f64 v[28:29], v[236:237], v[240:241]
	v_add_f64 v[0:1], v[0:1], v[32:33]
	v_fma_f64 v[26:27], s[0:1], v[18:19], v[216:217]
	v_fmac_f64_e32 v[216:217], s[6:7], v[18:19]
	v_add_f64 v[18:19], v[218:219], v[236:237]
	v_fmac_f64_e32 v[218:219], -0.5, v[28:29]
	v_add_f64 v[30:31], v[50:51], -v[238:239]
	v_add_f64 v[32:33], v[242:243], v[244:245]
	v_fma_f64 v[28:29], s[6:7], v[30:31], v[218:219]
	v_fmac_f64_e32 v[218:219], s[0:1], v[30:31]
	v_add_f64 v[30:31], v[220:221], v[242:243]
	v_fmac_f64_e32 v[220:221], -0.5, v[32:33]
	v_add_f64 v[32:33], v[36:37], -v[246:247]
	v_fma_f64 v[34:35], s[0:1], v[32:33], v[220:221]
	v_fmac_f64_e32 v[220:221], s[6:7], v[32:33]
	v_add_f64 v[32:33], v[222:223], v[36:37]
	v_add_f64 v[36:37], v[36:37], v[246:247]
	v_fmac_f64_e32 v[248:249], v[68:69], v[228:229]
	v_mul_f64 v[228:229], v[66:67], v[234:235]
	v_fmac_f64_e32 v[222:223], -0.5, v[36:37]
	v_add_f64 v[38:39], v[242:243], -v[244:245]
	v_fmac_f64_e32 v[228:229], v[64:65], v[232:233]
	v_fma_f64 v[36:37], s[6:7], v[38:39], v[222:223]
	v_fmac_f64_e32 v[222:223], s[0:1], v[38:39]
	v_add_f64 v[38:39], v[224:225], v[248:249]
	v_add_f64 v[64:65], v[38:39], v[228:229]
	;; [unrolled: 1-line block ×3, first 2 shown]
	v_fmac_f64_e32 v[224:225], -0.5, v[38:39]
	v_add_f64 v[38:39], v[70:71], -v[230:231]
	v_fma_f64 v[68:69], s[0:1], v[38:39], v[224:225]
	v_fmac_f64_e32 v[224:225], s[6:7], v[38:39]
	v_add_f64 v[38:39], v[226:227], v[70:71]
	v_add_f64 v[66:67], v[38:39], v[230:231]
	;; [unrolled: 1-line block ×3, first 2 shown]
	v_fmac_f64_e32 v[226:227], -0.5, v[38:39]
	v_add_f64 v[38:39], v[248:249], -v[228:229]
	v_add_f64 v[2:3], v[2:3], v[40:41]
	v_fma_f64 v[70:71], s[6:7], v[38:39], v[226:227]
	v_fmac_f64_e32 v[226:227], s[0:1], v[38:39]
	v_accvgpr_read_b32 v38, a79
	v_add_f64 v[8:9], v[8:9], v[46:47]
	v_add_f64 v[10:11], v[10:11], v[48:49]
	s_waitcnt lgkmcnt(0)
	; wave barrier
	ds_write_b128 v38, v[0:3]
	ds_write_b128 v38, v[4:7] offset:128
	ds_write_b128 v38, v[60:63] offset:256
	v_accvgpr_read_b32 v0, a80
	v_add_f64 v[16:17], v[16:17], v[238:239]
	v_add_f64 v[18:19], v[18:19], v[240:241]
	ds_write_b128 v0, v[8:11]
	ds_write_b128 v0, v[12:15] offset:128
	ds_write_b128 v0, v[212:215] offset:256
	v_accvgpr_read_b32 v0, a81
	v_add_f64 v[30:31], v[30:31], v[244:245]
	v_add_f64 v[32:33], v[32:33], v[246:247]
	ds_write_b128 v0, v[16:19]
	ds_write_b128 v0, v[26:29] offset:128
	ds_write_b128 v0, v[216:219] offset:256
	v_accvgpr_read_b32 v0, a82
	ds_write_b128 v0, v[30:33]
	ds_write_b128 v0, v[34:37] offset:128
	ds_write_b128 v0, v[220:223] offset:256
	v_accvgpr_read_b32 v0, a83
	ds_write_b128 v0, v[64:67]
	ds_write_b128 v0, v[68:71] offset:128
	ds_write_b128 v0, v[224:227] offset:256
	s_waitcnt lgkmcnt(0)
	; wave barrier
	s_waitcnt lgkmcnt(0)
	ds_read_b128 v[64:67], v20
	ds_read_b128 v[68:71], v20 offset:896
	ds_read_b128 v[0:3], v20 offset:5376
	;; [unrolled: 1-line block ×14, first 2 shown]
	s_waitcnt lgkmcnt(8)
	v_mul_f64 v[38:39], v[86:87], v[18:19]
	v_fmac_f64_e32 v[38:39], v[84:85], v[16:17]
	v_mul_f64 v[16:17], v[86:87], v[16:17]
	v_fma_f64 v[16:17], v[84:85], v[18:19], -v[16:17]
	v_mul_f64 v[18:19], v[82:83], v[2:3]
	v_fmac_f64_e32 v[18:19], v[80:81], v[0:1]
	v_mul_f64 v[0:1], v[82:83], v[0:1]
	v_fma_f64 v[40:41], v[80:81], v[2:3], -v[0:1]
	s_waitcnt lgkmcnt(4)
	v_mul_f64 v[42:43], v[78:79], v[36:37]
	v_mul_f64 v[0:1], v[78:79], v[34:35]
	v_fmac_f64_e32 v[42:43], v[76:77], v[34:35]
	v_fma_f64 v[34:35], v[76:77], v[36:37], -v[0:1]
	v_mul_f64 v[0:1], v[74:75], v[8:9]
	v_mul_f64 v[46:47], v[102:103], v[28:29]
	v_fma_f64 v[44:45], v[72:73], v[10:11], -v[0:1]
	v_fmac_f64_e32 v[46:47], v[100:101], v[26:27]
	v_mul_f64 v[0:1], v[102:103], v[26:27]
	v_add_f64 v[26:27], v[64:65], v[38:39]
	v_mul_f64 v[36:37], v[74:75], v[10:11]
	v_fma_f64 v[48:49], v[100:101], v[28:29], -v[0:1]
	v_mul_f64 v[50:51], v[98:99], v[6:7]
	v_mul_f64 v[0:1], v[98:99], v[4:5]
	v_add_f64 v[26:27], v[26:27], v[18:19]
	v_fmac_f64_e32 v[36:37], v[72:73], v[8:9]
	v_fmac_f64_e32 v[50:51], v[96:97], v[4:5]
	v_fma_f64 v[96:97], v[96:97], v[6:7], -v[0:1]
	s_waitcnt lgkmcnt(2)
	v_mul_f64 v[98:99], v[94:95], v[218:219]
	v_mul_f64 v[0:1], v[94:95], v[216:217]
	v_add_f64 v[26:27], v[26:27], v[42:43]
	v_fmac_f64_e32 v[98:99], v[92:93], v[216:217]
	v_fma_f64 v[92:93], v[92:93], v[218:219], -v[0:1]
	v_mul_f64 v[94:95], v[90:91], v[14:15]
	v_mul_f64 v[0:1], v[90:91], v[12:13]
	v_add_f64 v[76:77], v[26:27], v[36:37]
	v_add_f64 v[26:27], v[18:19], v[42:43]
	s_mov_b32 s6, 0x134454ff
	v_fmac_f64_e32 v[94:95], v[88:89], v[12:13]
	v_fma_f64 v[88:89], v[88:89], v[14:15], -v[0:1]
	v_mul_f64 v[8:9], v[130:131], v[32:33]
	v_mul_f64 v[0:1], v[130:131], v[30:31]
	v_fma_f64 v[72:73], -0.5, v[26:27], v[64:65]
	v_add_f64 v[26:27], v[16:17], -v[44:45]
	s_mov_b32 s7, 0xbfee6f0e
	s_mov_b32 s0, 0x4755a5e
	s_mov_b32 s17, 0x3fee6f0e
	s_mov_b32 s16, s6
	v_fmac_f64_e32 v[8:9], v[128:129], v[30:31]
	v_fma_f64 v[0:1], v[128:129], v[32:33], -v[0:1]
	v_fma_f64 v[80:81], s[6:7], v[26:27], v[72:73]
	v_add_f64 v[28:29], v[40:41], -v[34:35]
	s_mov_b32 s1, 0xbfe2cf23
	v_add_f64 v[30:31], v[38:39], -v[18:19]
	v_add_f64 v[32:33], v[36:37], -v[42:43]
	s_mov_b32 s14, 0x372fe950
	v_fmac_f64_e32 v[72:73], s[16:17], v[26:27]
	s_mov_b32 s19, 0x3fe2cf23
	s_mov_b32 s18, s0
	v_fmac_f64_e32 v[80:81], s[0:1], v[28:29]
	v_add_f64 v[30:31], v[30:31], v[32:33]
	s_mov_b32 s15, 0x3fd3c6ef
	v_fmac_f64_e32 v[72:73], s[18:19], v[28:29]
	v_fmac_f64_e32 v[80:81], s[14:15], v[30:31]
	;; [unrolled: 1-line block ×3, first 2 shown]
	v_add_f64 v[30:31], v[38:39], v[36:37]
	v_fmac_f64_e32 v[64:65], -0.5, v[30:31]
	v_fma_f64 v[84:85], s[16:17], v[28:29], v[64:65]
	v_fmac_f64_e32 v[64:65], s[6:7], v[28:29]
	v_fmac_f64_e32 v[84:85], s[0:1], v[26:27]
	;; [unrolled: 1-line block ×3, first 2 shown]
	v_add_f64 v[26:27], v[66:67], v[16:17]
	v_add_f64 v[26:27], v[26:27], v[40:41]
	;; [unrolled: 1-line block ×3, first 2 shown]
	v_add_f64 v[30:31], v[18:19], -v[38:39]
	v_add_f64 v[32:33], v[42:43], -v[36:37]
	v_add_f64 v[78:79], v[26:27], v[44:45]
	v_add_f64 v[26:27], v[40:41], v[34:35]
	;; [unrolled: 1-line block ×3, first 2 shown]
	v_fma_f64 v[74:75], -0.5, v[26:27], v[66:67]
	v_add_f64 v[26:27], v[38:39], -v[36:37]
	v_fmac_f64_e32 v[84:85], s[14:15], v[30:31]
	v_fmac_f64_e32 v[64:65], s[14:15], v[30:31]
	v_fma_f64 v[82:83], s[16:17], v[26:27], v[74:75]
	v_add_f64 v[18:19], v[18:19], -v[42:43]
	v_add_f64 v[28:29], v[16:17], -v[40:41]
	;; [unrolled: 1-line block ×3, first 2 shown]
	v_fmac_f64_e32 v[74:75], s[6:7], v[26:27]
	v_fmac_f64_e32 v[82:83], s[18:19], v[18:19]
	v_add_f64 v[28:29], v[28:29], v[30:31]
	v_fmac_f64_e32 v[74:75], s[0:1], v[18:19]
	v_fmac_f64_e32 v[82:83], s[14:15], v[28:29]
	;; [unrolled: 1-line block ×3, first 2 shown]
	v_add_f64 v[28:29], v[16:17], v[44:45]
	v_fmac_f64_e32 v[66:67], -0.5, v[28:29]
	v_fma_f64 v[86:87], s[6:7], v[18:19], v[66:67]
	v_fmac_f64_e32 v[66:67], s[16:17], v[18:19]
	v_add_f64 v[18:19], v[50:51], v[98:99]
	v_fmac_f64_e32 v[86:87], s[18:19], v[26:27]
	v_add_f64 v[16:17], v[40:41], -v[16:17]
	v_add_f64 v[28:29], v[34:35], -v[44:45]
	v_fmac_f64_e32 v[66:67], s[0:1], v[26:27]
	v_fma_f64 v[26:27], -0.5, v[18:19], v[68:69]
	v_add_f64 v[18:19], v[48:49], -v[88:89]
	v_add_f64 v[16:17], v[16:17], v[28:29]
	v_fma_f64 v[30:31], s[6:7], v[18:19], v[26:27]
	v_add_f64 v[28:29], v[96:97], -v[92:93]
	v_add_f64 v[32:33], v[46:47], -v[50:51]
	;; [unrolled: 1-line block ×3, first 2 shown]
	v_fmac_f64_e32 v[26:27], s[16:17], v[18:19]
	v_fmac_f64_e32 v[30:31], s[0:1], v[28:29]
	v_add_f64 v[32:33], v[32:33], v[34:35]
	v_fmac_f64_e32 v[26:27], s[18:19], v[28:29]
	v_fmac_f64_e32 v[30:31], s[14:15], v[32:33]
	;; [unrolled: 1-line block ×3, first 2 shown]
	v_add_f64 v[32:33], v[46:47], v[94:95]
	v_fmac_f64_e32 v[86:87], s[14:15], v[16:17]
	v_fmac_f64_e32 v[66:67], s[14:15], v[16:17]
	v_add_f64 v[16:17], v[68:69], v[46:47]
	v_fmac_f64_e32 v[68:69], -0.5, v[32:33]
	v_fma_f64 v[34:35], s[16:17], v[28:29], v[68:69]
	v_add_f64 v[32:33], v[50:51], -v[46:47]
	v_add_f64 v[36:37], v[98:99], -v[94:95]
	v_fmac_f64_e32 v[68:69], s[6:7], v[28:29]
	v_add_f64 v[28:29], v[96:97], v[92:93]
	v_fmac_f64_e32 v[34:35], s[0:1], v[18:19]
	v_add_f64 v[32:33], v[32:33], v[36:37]
	v_fmac_f64_e32 v[68:69], s[18:19], v[18:19]
	v_fma_f64 v[28:29], -0.5, v[28:29], v[70:71]
	v_add_f64 v[38:39], v[46:47], -v[94:95]
	v_fmac_f64_e32 v[34:35], s[14:15], v[32:33]
	v_fmac_f64_e32 v[68:69], s[14:15], v[32:33]
	v_fma_f64 v[32:33], s[16:17], v[38:39], v[28:29]
	v_add_f64 v[40:41], v[50:51], -v[98:99]
	v_add_f64 v[36:37], v[48:49], -v[96:97]
	;; [unrolled: 1-line block ×3, first 2 shown]
	v_fmac_f64_e32 v[28:29], s[6:7], v[38:39]
	v_fmac_f64_e32 v[32:33], s[18:19], v[40:41]
	v_add_f64 v[36:37], v[36:37], v[42:43]
	v_fmac_f64_e32 v[28:29], s[0:1], v[40:41]
	v_fmac_f64_e32 v[32:33], s[14:15], v[36:37]
	;; [unrolled: 1-line block ×3, first 2 shown]
	v_add_f64 v[36:37], v[48:49], v[88:89]
	v_add_f64 v[18:19], v[70:71], v[48:49]
	v_fmac_f64_e32 v[70:71], -0.5, v[36:37]
	v_mul_f64 v[10:11], v[122:123], v[62:63]
	v_fma_f64 v[36:37], s[6:7], v[40:41], v[70:71]
	v_fmac_f64_e32 v[70:71], s[16:17], v[40:41]
	v_fmac_f64_e32 v[10:11], v[120:121], v[60:61]
	s_waitcnt lgkmcnt(1)
	v_mul_f64 v[12:13], v[114:115], v[222:223]
	v_fmac_f64_e32 v[36:37], s[18:19], v[38:39]
	v_fmac_f64_e32 v[70:71], s[0:1], v[38:39]
	v_add_f64 v[38:39], v[212:213], v[8:9]
	v_fmac_f64_e32 v[12:13], v[112:113], v[220:221]
	s_waitcnt lgkmcnt(0)
	v_mul_f64 v[14:15], v[106:107], v[226:227]
	v_add_f64 v[18:19], v[18:19], v[96:97]
	v_add_f64 v[38:39], v[38:39], v[10:11]
	v_fmac_f64_e32 v[14:15], v[104:105], v[224:225]
	v_mul_f64 v[6:7], v[106:107], v[224:225]
	v_add_f64 v[18:19], v[18:19], v[92:93]
	v_add_f64 v[38:39], v[38:39], v[12:13]
	v_mul_f64 v[2:3], v[122:123], v[60:61]
	v_mul_f64 v[4:5], v[114:115], v[220:221]
	v_fma_f64 v[6:7], v[104:105], v[226:227], -v[6:7]
	v_add_f64 v[18:19], v[18:19], v[88:89]
	v_add_f64 v[42:43], v[96:97], -v[48:49]
	v_add_f64 v[44:45], v[92:93], -v[88:89]
	v_add_f64 v[88:89], v[38:39], v[14:15]
	v_add_f64 v[38:39], v[10:11], v[12:13]
	v_fma_f64 v[2:3], v[120:121], v[62:63], -v[2:3]
	v_fma_f64 v[4:5], v[112:113], v[222:223], -v[4:5]
	v_add_f64 v[42:43], v[42:43], v[44:45]
	v_fma_f64 v[60:61], -0.5, v[38:39], v[212:213]
	v_add_f64 v[38:39], v[0:1], -v[6:7]
	v_fmac_f64_e32 v[36:37], s[14:15], v[42:43]
	v_fmac_f64_e32 v[70:71], s[14:15], v[42:43]
	v_fma_f64 v[92:93], s[6:7], v[38:39], v[60:61]
	v_add_f64 v[40:41], v[2:3], -v[4:5]
	v_add_f64 v[42:43], v[8:9], -v[10:11]
	;; [unrolled: 1-line block ×3, first 2 shown]
	v_fmac_f64_e32 v[60:61], s[16:17], v[38:39]
	v_fmac_f64_e32 v[92:93], s[0:1], v[40:41]
	v_add_f64 v[42:43], v[42:43], v[44:45]
	v_fmac_f64_e32 v[60:61], s[18:19], v[40:41]
	v_fmac_f64_e32 v[92:93], s[14:15], v[42:43]
	;; [unrolled: 1-line block ×3, first 2 shown]
	v_add_f64 v[42:43], v[8:9], v[14:15]
	v_fmac_f64_e32 v[212:213], -0.5, v[42:43]
	v_fma_f64 v[96:97], s[16:17], v[40:41], v[212:213]
	v_fmac_f64_e32 v[212:213], s[6:7], v[40:41]
	v_fmac_f64_e32 v[96:97], s[0:1], v[38:39]
	;; [unrolled: 1-line block ×3, first 2 shown]
	v_add_f64 v[38:39], v[214:215], v[0:1]
	v_add_f64 v[38:39], v[38:39], v[2:3]
	;; [unrolled: 1-line block ×7, first 2 shown]
	v_add_f64 v[42:43], v[10:11], -v[8:9]
	v_fma_f64 v[62:63], -0.5, v[38:39], v[214:215]
	v_add_f64 v[8:9], v[8:9], -v[14:15]
	v_add_f64 v[16:17], v[16:17], v[94:95]
	v_add_f64 v[44:45], v[12:13], -v[14:15]
	v_fma_f64 v[94:95], s[16:17], v[8:9], v[62:63]
	v_add_f64 v[10:11], v[10:11], -v[12:13]
	v_add_f64 v[12:13], v[0:1], -v[2:3]
	;; [unrolled: 1-line block ×3, first 2 shown]
	v_fmac_f64_e32 v[62:63], s[6:7], v[8:9]
	v_fmac_f64_e32 v[94:95], s[18:19], v[10:11]
	v_add_f64 v[12:13], v[12:13], v[14:15]
	v_fmac_f64_e32 v[62:63], s[0:1], v[10:11]
	v_fmac_f64_e32 v[94:95], s[14:15], v[12:13]
	;; [unrolled: 1-line block ×3, first 2 shown]
	v_add_f64 v[12:13], v[0:1], v[6:7]
	v_fmac_f64_e32 v[214:215], -0.5, v[12:13]
	v_fma_f64 v[98:99], s[6:7], v[10:11], v[214:215]
	v_add_f64 v[0:1], v[2:3], -v[0:1]
	v_add_f64 v[2:3], v[4:5], -v[6:7]
	v_add_f64 v[42:43], v[42:43], v[44:45]
	v_fmac_f64_e32 v[98:99], s[18:19], v[8:9]
	v_add_f64 v[0:1], v[0:1], v[2:3]
	v_fmac_f64_e32 v[214:215], s[16:17], v[10:11]
	v_fmac_f64_e32 v[96:97], s[14:15], v[42:43]
	;; [unrolled: 1-line block ×6, first 2 shown]
	s_waitcnt lgkmcnt(0)
	; wave barrier
	ds_write_b128 v21, v[76:79]
	ds_write_b128 v21, v[80:83] offset:384
	ds_write_b128 v21, v[84:87] offset:768
	ds_write_b128 v21, v[64:67] offset:1152
	ds_write_b128 v21, v[72:75] offset:1536
	ds_write_b128 v23, v[16:19]
	ds_write_b128 v23, v[30:33] offset:384
	ds_write_b128 v23, v[34:37] offset:768
	ds_write_b128 v23, v[68:71] offset:1152
	ds_write_b128 v23, v[26:29] offset:1536
	;; [unrolled: 5-line block ×3, first 2 shown]
	s_waitcnt lgkmcnt(0)
	; wave barrier
	s_waitcnt lgkmcnt(0)
	ds_read_b128 v[68:71], v20
	ds_read_b128 v[64:67], v20 offset:896
	ds_read_b128 v[128:131], v20 offset:1920
	;; [unrolled: 1-line block ×13, first 2 shown]
	s_and_saveexec_b64 s[0:1], s[2:3]
	s_cbranch_execz .LBB0_35
; %bb.34:
	ds_read_b128 v[60:63], v20 offset:1792
	ds_read_b128 v[56:59], v20 offset:3712
	;; [unrolled: 1-line block ×7, first 2 shown]
.LBB0_35:
	s_or_b64 exec, exec, s[0:1]
	s_waitcnt lgkmcnt(11)
	v_mul_f64 v[0:1], v[158:159], v[130:131]
	s_waitcnt lgkmcnt(9)
	v_mul_f64 v[4:5], v[150:151], v[122:123]
	;; [unrolled: 2-line block ×5, first 2 shown]
	v_fmac_f64_e32 v[0:1], v[156:157], v[128:129]
	v_mul_f64 v[2:3], v[158:159], v[128:129]
	v_fmac_f64_e32 v[4:5], v[148:149], v[120:121]
	v_mul_f64 v[6:7], v[150:151], v[120:121]
	v_mul_f64 v[8:9], v[146:147], v[114:115]
	;; [unrolled: 1-line block ×3, first 2 shown]
	v_fmac_f64_e32 v[16:17], v[164:165], v[100:101]
	v_mul_f64 v[18:19], v[166:167], v[100:101]
	v_fmac_f64_e32 v[26:27], v[152:153], v[96:97]
	v_mul_f64 v[28:29], v[154:155], v[96:97]
	;; [unrolled: 2-line block ×3, first 2 shown]
	v_fma_f64 v[2:3], v[156:157], v[130:131], -v[2:3]
	v_fma_f64 v[6:7], v[148:149], v[122:123], -v[6:7]
	v_fmac_f64_e32 v[8:9], v[144:145], v[112:113]
	v_mul_f64 v[10:11], v[146:147], v[112:113]
	v_fmac_f64_e32 v[12:13], v[140:141], v[104:105]
	v_mul_f64 v[14:15], v[142:143], v[104:105]
	v_fma_f64 v[18:19], v[164:165], v[102:103], -v[18:19]
	v_fma_f64 v[28:29], v[152:153], v[98:99], -v[28:29]
	v_mul_f64 v[46:47], v[190:191], v[78:79]
	v_fma_f64 v[72:73], v[180:181], v[74:75], -v[72:73]
	v_add_f64 v[74:75], v[0:1], v[26:27]
	v_add_f64 v[0:1], v[0:1], -v[26:27]
	v_add_f64 v[26:27], v[4:5], v[16:17]
	v_fma_f64 v[10:11], v[144:145], v[114:115], -v[10:11]
	v_fma_f64 v[14:15], v[140:141], v[106:107], -v[14:15]
	v_fmac_f64_e32 v[46:47], v[188:189], v[76:77]
	v_mul_f64 v[48:49], v[190:191], v[76:77]
	v_add_f64 v[76:77], v[2:3], v[28:29]
	v_add_f64 v[2:3], v[2:3], -v[28:29]
	v_add_f64 v[28:29], v[6:7], v[18:19]
	v_add_f64 v[4:5], v[4:5], -v[16:17]
	;; [unrolled: 2-line block ×5, first 2 shown]
	v_add_f64 v[14:15], v[28:29], v[76:77]
	v_add_f64 v[12:13], v[16:17], v[12:13]
	v_mul_f64 v[36:37], v[178:179], v[88:89]
	v_mul_f64 v[42:43], v[170:171], v[82:83]
	v_add_f64 v[14:15], v[18:19], v[14:15]
	v_add_f64 v[68:69], v[68:69], v[12:13]
	s_mov_b32 s14, 0x37e14327
	s_mov_b32 s16, 0x36b3c0b5
	s_mov_b32 s26, 0xaaaaaaaa
	v_mul_f64 v[34:35], v[178:179], v[90:91]
	v_fma_f64 v[36:37], v[176:177], v[90:91], -v[36:37]
	v_mul_f64 v[38:39], v[174:175], v[86:87]
	v_mul_f64 v[40:41], v[174:175], v[84:85]
	v_fmac_f64_e32 v[42:43], v[168:169], v[80:81]
	v_mul_f64 v[44:45], v[170:171], v[80:81]
	v_fma_f64 v[48:49], v[188:189], v[78:79], -v[48:49]
	v_add_f64 v[78:79], v[26:27], -v[74:75]
	v_add_f64 v[80:81], v[28:29], -v[76:77]
	;; [unrolled: 1-line block ×6, first 2 shown]
	v_add_f64 v[70:71], v[70:71], v[14:15]
	s_mov_b32 s15, 0x3fe948f6
	s_mov_b32 s17, 0x3fac98ee
	;; [unrolled: 1-line block ×5, first 2 shown]
	v_mov_b64_e32 v[90:91], v[68:69]
	s_mov_b32 s6, 0x5476071b
	v_mul_f64 v[30:31], v[186:187], v[94:95]
	v_fmac_f64_e32 v[34:35], v[176:177], v[88:89]
	v_fmac_f64_e32 v[38:39], v[172:173], v[84:85]
	v_fma_f64 v[40:41], v[172:173], v[86:87], -v[40:41]
	v_fma_f64 v[44:45], v[168:169], v[82:83], -v[44:45]
	v_add_f64 v[82:83], v[8:9], v[4:5]
	v_add_f64 v[84:85], v[10:11], v[6:7]
	v_add_f64 v[86:87], v[8:9], -v[4:5]
	v_add_f64 v[88:89], v[10:11], -v[6:7]
	;; [unrolled: 1-line block ×4, first 2 shown]
	v_mul_f64 v[16:17], v[74:75], s[14:15]
	v_mul_f64 v[18:19], v[76:77], s[14:15]
	;; [unrolled: 1-line block ×4, first 2 shown]
	s_mov_b32 s19, 0x3fe11646
	s_mov_b32 s1, 0xbfebfeb5
	v_fmac_f64_e32 v[90:91], s[26:27], v[12:13]
	v_mov_b64_e32 v[12:13], v[70:71]
	s_mov_b32 s7, 0x3fe77f67
	s_mov_b32 s21, 0xbfe77f67
	;; [unrolled: 1-line block ×4, first 2 shown]
	v_fmac_f64_e32 v[30:31], v[184:185], v[92:93]
	v_mul_f64 v[32:33], v[186:187], v[92:93]
	v_add_f64 v[8:9], v[0:1], -v[8:9]
	v_add_f64 v[10:11], v[2:3], -v[10:11]
	v_add_f64 v[0:1], v[82:83], v[0:1]
	v_add_f64 v[2:3], v[84:85], v[2:3]
	v_mul_f64 v[82:83], v[86:87], s[18:19]
	v_mul_f64 v[84:85], v[88:89], s[18:19]
	;; [unrolled: 1-line block ×4, first 2 shown]
	v_fmac_f64_e32 v[12:13], s[26:27], v[14:15]
	v_fma_f64 v[14:15], v[78:79], s[6:7], -v[74:75]
	v_fma_f64 v[74:75], v[80:81], s[6:7], -v[76:77]
	;; [unrolled: 1-line block ×3, first 2 shown]
	v_fmac_f64_e32 v[16:17], s[16:17], v[26:27]
	s_mov_b32 s29, 0xbfd5d0dc
	s_mov_b32 s25, 0x3fd5d0dc
	;; [unrolled: 1-line block ×4, first 2 shown]
	v_fma_f64 v[32:33], v[184:185], v[94:95], -v[32:33]
	v_fma_f64 v[26:27], v[80:81], s[20:21], -v[18:19]
	v_fmac_f64_e32 v[18:19], s[16:17], v[28:29]
	v_fma_f64 v[28:29], v[4:5], s[0:1], -v[82:83]
	v_fmac_f64_e32 v[82:83], s[28:29], v[8:9]
	v_fma_f64 v[78:79], v[6:7], s[0:1], -v[84:85]
	v_fma_f64 v[80:81], v[8:9], s[24:25], -v[86:87]
	;; [unrolled: 1-line block ×3, first 2 shown]
	v_add_f64 v[88:89], v[16:17], v[90:91]
	v_add_f64 v[16:17], v[74:75], v[12:13]
	s_mov_b32 s23, 0xbfdc38aa
	v_add_f64 v[74:75], v[30:31], v[50:51]
	v_add_f64 v[30:31], v[30:31], -v[50:51]
	v_add_f64 v[50:51], v[34:35], v[46:47]
	v_fmac_f64_e32 v[84:85], s[28:29], v[10:11]
	v_add_f64 v[92:93], v[18:19], v[12:13]
	v_add_f64 v[14:15], v[14:15], v[90:91]
	v_add_f64 v[18:19], v[76:77], v[90:91]
	v_fmac_f64_e32 v[82:83], s[22:23], v[0:1]
	v_fmac_f64_e32 v[28:29], s[22:23], v[0:1]
	;; [unrolled: 1-line block ×3, first 2 shown]
	v_add_f64 v[76:77], v[32:33], v[72:73]
	v_add_f64 v[32:33], v[32:33], -v[72:73]
	v_add_f64 v[72:73], v[36:37], v[48:49]
	v_add_f64 v[34:35], v[34:35], -v[46:47]
	;; [unrolled: 2-line block ×3, first 2 shown]
	v_add_f64 v[42:43], v[50:51], v[74:75]
	v_add_f64 v[26:27], v[26:27], v[12:13]
	v_fmac_f64_e32 v[84:85], s[22:23], v[2:3]
	v_fmac_f64_e32 v[80:81], s[22:23], v[0:1]
	;; [unrolled: 1-line block ×3, first 2 shown]
	v_add_f64 v[2:3], v[92:93], -v[82:83]
	v_add_f64 v[8:9], v[14:15], -v[78:79]
	v_add_f64 v[10:11], v[28:29], v[16:17]
	v_add_f64 v[12:13], v[78:79], v[14:15]
	v_add_f64 v[14:15], v[16:17], -v[28:29]
	v_add_f64 v[28:29], v[82:83], v[92:93]
	v_add_f64 v[36:37], v[36:37], -v[48:49]
	;; [unrolled: 2-line block ×3, first 2 shown]
	v_add_f64 v[44:45], v[72:73], v[76:77]
	v_add_f64 v[82:83], v[38:39], v[34:35]
	v_add_f64 v[42:43], v[46:47], v[42:43]
	v_add_f64 v[0:1], v[84:85], v[88:89]
	v_add_f64 v[4:5], v[86:87], v[18:19]
	v_add_f64 v[6:7], v[26:27], -v[80:81]
	v_add_f64 v[16:17], v[18:19], -v[86:87]
	v_add_f64 v[18:19], v[80:81], v[26:27]
	v_add_f64 v[26:27], v[88:89], -v[84:85]
	v_add_f64 v[78:79], v[50:51], -v[74:75]
	;; [unrolled: 1-line block ×4, first 2 shown]
	v_add_f64 v[84:85], v[40:41], v[36:37]
	v_add_f64 v[86:87], v[38:39], -v[34:35]
	v_add_f64 v[38:39], v[30:31], -v[38:39]
	;; [unrolled: 1-line block ×3, first 2 shown]
	v_add_f64 v[44:45], v[48:49], v[44:45]
	v_add_f64 v[46:47], v[82:83], v[30:31]
	;; [unrolled: 1-line block ×3, first 2 shown]
	v_add_f64 v[80:81], v[72:73], -v[76:77]
	v_add_f64 v[76:77], v[76:77], -v[48:49]
	;; [unrolled: 1-line block ×6, first 2 shown]
	v_add_f64 v[48:49], v[84:85], v[32:33]
	v_add_f64 v[32:33], v[66:67], v[44:45]
	v_mov_b64_e32 v[90:91], v[30:31]
	v_mul_f64 v[64:65], v[74:75], s[14:15]
	v_mul_f64 v[66:67], v[76:77], s[14:15]
	;; [unrolled: 1-line block ×8, first 2 shown]
	v_fmac_f64_e32 v[90:91], s[26:27], v[42:43]
	v_mov_b64_e32 v[42:43], v[32:33]
	v_fmac_f64_e32 v[42:43], s[26:27], v[44:45]
	v_fma_f64 v[44:45], v[78:79], s[6:7], -v[74:75]
	v_fma_f64 v[74:75], v[80:81], s[6:7], -v[76:77]
	;; [unrolled: 1-line block ×3, first 2 shown]
	v_fmac_f64_e32 v[64:65], s[16:17], v[50:51]
	v_fma_f64 v[50:51], v[80:81], s[20:21], -v[66:67]
	v_fmac_f64_e32 v[66:67], s[16:17], v[72:73]
	v_fma_f64 v[78:79], v[34:35], s[0:1], -v[86:87]
	v_fmac_f64_e32 v[86:87], s[28:29], v[38:39]
	v_fma_f64 v[80:81], v[36:37], s[0:1], -v[84:85]
	v_fmac_f64_e32 v[84:85], s[28:29], v[40:41]
	v_fma_f64 v[38:39], v[38:39], s[24:25], -v[82:83]
	v_fma_f64 v[40:41], v[40:41], s[24:25], -v[88:89]
	v_add_f64 v[88:89], v[64:65], v[90:91]
	v_add_f64 v[92:93], v[66:67], v[42:43]
	;; [unrolled: 1-line block ×6, first 2 shown]
	v_fmac_f64_e32 v[86:87], s[22:23], v[46:47]
	v_fmac_f64_e32 v[84:85], s[22:23], v[48:49]
	;; [unrolled: 1-line block ×6, first 2 shown]
	v_add_f64 v[34:35], v[84:85], v[88:89]
	v_add_f64 v[36:37], v[92:93], -v[86:87]
	v_add_f64 v[64:65], v[40:41], v[90:91]
	v_add_f64 v[66:67], v[42:43], -v[38:39]
	v_add_f64 v[72:73], v[44:45], -v[80:81]
	v_add_f64 v[74:75], v[78:79], v[82:83]
	v_add_f64 v[76:77], v[80:81], v[44:45]
	v_add_f64 v[78:79], v[82:83], -v[78:79]
	v_add_f64 v[80:81], v[90:91], -v[40:41]
	v_add_f64 v[82:83], v[38:39], v[42:43]
	v_add_f64 v[84:85], v[88:89], -v[84:85]
	v_add_f64 v[86:87], v[86:87], v[92:93]
	ds_write_b128 v20, v[68:71]
	ds_write_b128 v20, v[0:3] offset:1920
	ds_write_b128 v20, v[4:7] offset:3840
	;; [unrolled: 1-line block ×13, first 2 shown]
	s_and_saveexec_b64 s[30:31], s[2:3]
	s_cbranch_execz .LBB0_37
; %bb.36:
	v_mul_f64 v[0:1], v[134:135], v[58:59]
	v_mul_f64 v[4:5], v[138:139], v[210:211]
	;; [unrolled: 1-line block ×6, first 2 shown]
	v_fmac_f64_e32 v[0:1], v[132:133], v[56:57]
	v_fmac_f64_e32 v[4:5], v[136:137], v[208:209]
	;; [unrolled: 1-line block ×6, first 2 shown]
	v_add_f64 v[8:9], v[0:1], -v[4:5]
	v_add_f64 v[2:3], v[10:11], -v[12:13]
	;; [unrolled: 1-line block ×5, first 2 shown]
	v_add_f64 v[2:3], v[2:3], v[26:27]
	v_add_f64 v[32:33], v[2:3], v[8:9]
	v_mul_f64 v[2:3], v[138:139], v[208:209]
	v_fma_f64 v[34:35], v[136:137], v[210:211], -v[2:3]
	v_mul_f64 v[2:3], v[134:135], v[56:57]
	v_fma_f64 v[36:37], v[132:133], v[58:59], -v[2:3]
	v_mul_f64 v[2:3], v[162:163], v[204:205]
	v_mul_f64 v[28:29], v[6:7], s[18:19]
	v_fma_f64 v[40:41], v[160:161], v[206:207], -v[2:3]
	v_mul_f64 v[2:3], v[126:127], v[192:193]
	v_mul_f64 v[6:7], v[118:119], v[196:197]
	v_fma_f64 v[42:43], v[124:125], v[194:195], -v[2:3]
	v_fma_f64 v[46:47], v[116:117], v[198:199], -v[6:7]
	v_mul_f64 v[6:7], v[110:111], v[200:201]
	v_add_f64 v[64:65], v[0:1], v[4:5]
	v_add_f64 v[16:17], v[16:17], v[18:19]
	;; [unrolled: 1-line block ×4, first 2 shown]
	v_fma_f64 v[48:49], v[108:109], v[202:203], -v[6:7]
	v_add_f64 v[0:1], v[16:17], v[64:65]
	v_add_f64 v[4:5], v[12:13], v[10:11]
	;; [unrolled: 1-line block ×8, first 2 shown]
	v_mov_b64_e32 v[12:13], v[0:1]
	v_mov_b64_e32 v[56:57], v[2:3]
	v_fmac_f64_e32 v[12:13], s[26:27], v[10:11]
	v_add_f64 v[10:11], v[64:65], -v[4:5]
	v_add_f64 v[26:27], v[26:27], -v[8:9]
	v_fmac_f64_e32 v[56:57], s[26:27], v[50:51]
	v_add_f64 v[50:51], v[38:39], -v[6:7]
	v_mul_f64 v[18:19], v[10:11], s[14:15]
	v_add_f64 v[4:5], v[4:5], -v[16:17]
	v_mul_f64 v[8:9], v[26:27], s[0:1]
	v_fma_f64 v[30:31], s[28:29], v[14:15], v[28:29]
	v_mul_f64 v[50:51], v[50:51], s[14:15]
	v_mul_f64 v[60:61], v[4:5], s[16:17]
	v_fma_f64 v[4:5], s[16:17], v[4:5], v[18:19]
	v_fma_f64 v[68:69], v[14:15], s[24:25], -v[8:9]
	v_add_f64 v[14:15], v[44:45], -v[38:39]
	v_add_f64 v[66:67], v[4:5], v[12:13]
	v_add_f64 v[34:35], v[36:37], -v[34:35]
	v_add_f64 v[4:5], v[48:49], -v[46:47]
	;; [unrolled: 1-line block ×3, first 2 shown]
	v_fma_f64 v[8:9], v[14:15], s[20:21], -v[50:51]
	v_add_f64 v[16:17], v[16:17], -v[64:65]
	v_add_f64 v[6:7], v[6:7], -v[44:45]
	;; [unrolled: 1-line block ×3, first 2 shown]
	v_add_f64 v[38:39], v[8:9], v[56:57]
	v_fma_f64 v[8:9], v[16:17], s[20:21], -v[18:19]
	v_add_f64 v[18:19], v[40:41], -v[34:35]
	v_mul_f64 v[58:59], v[6:7], s[16:17]
	v_add_f64 v[36:37], v[34:35], -v[4:5]
	v_mul_f64 v[42:43], v[10:11], s[18:19]
	v_add_f64 v[4:5], v[4:5], v[40:41]
	v_add_f64 v[44:45], v[8:9], v[12:13]
	v_mul_f64 v[8:9], v[18:19], s[0:1]
	v_fma_f64 v[6:7], s[16:17], v[6:7], v[50:51]
	v_fma_f64 v[46:47], s[28:29], v[36:37], v[42:43]
	v_add_f64 v[48:49], v[4:5], v[34:35]
	v_fma_f64 v[34:35], v[36:37], s[24:25], -v[8:9]
	v_fma_f64 v[14:15], v[14:15], s[6:7], -v[58:59]
	;; [unrolled: 1-line block ×5, first 2 shown]
	v_fmac_f64_e32 v[30:31], s[22:23], v[32:33]
	v_add_f64 v[62:63], v[6:7], v[56:57]
	v_fmac_f64_e32 v[46:47], s[22:23], v[48:49]
	v_fmac_f64_e32 v[68:69], s[22:23], v[32:33]
	;; [unrolled: 1-line block ×3, first 2 shown]
	v_add_f64 v[36:37], v[14:15], v[56:57]
	v_fmac_f64_e32 v[26:27], s[22:23], v[32:33]
	v_add_f64 v[16:17], v[16:17], v[12:13]
	v_fmac_f64_e32 v[28:29], s[22:23], v[48:49]
	v_add_f64 v[6:7], v[30:31], v[62:63]
	v_add_f64 v[4:5], v[66:67], -v[46:47]
	v_add_f64 v[10:11], v[68:69], v[38:39]
	v_add_f64 v[8:9], v[44:45], -v[34:35]
	v_add_f64 v[14:15], v[36:37], -v[26:27]
	v_add_f64 v[12:13], v[28:29], v[16:17]
	v_add_f64 v[18:19], v[26:27], v[36:37]
	v_add_f64 v[16:17], v[16:17], -v[28:29]
	v_add_f64 v[28:29], v[38:39], -v[68:69]
	v_add_f64 v[26:27], v[34:35], v[44:45]
	v_add_f64 v[32:33], v[62:63], -v[30:31]
	v_add_f64 v[30:31], v[46:47], v[66:67]
	ds_write_b128 v20, v[0:3] offset:1792
	ds_write_b128 v20, v[30:33] offset:3712
	;; [unrolled: 1-line block ×7, first 2 shown]
.LBB0_37:
	s_or_b64 exec, exec, s[30:31]
	s_waitcnt lgkmcnt(0)
	; wave barrier
	s_waitcnt lgkmcnt(0)
	ds_read_b128 v[0:3], v20
	v_mad_u64_u32 v[14:15], s[0:1], s10, v24, 0
	v_mov_b32_e32 v4, v15
	v_mad_u64_u32 v[4:5], s[0:1], s11, v24, v[4:5]
	v_mov_b32_e32 v15, v4
	ds_read_b128 v[4:7], v20 offset:896
	s_waitcnt lgkmcnt(1)
	v_mul_f64 v[8:9], v[54:55], v[2:3]
	v_fmac_f64_e32 v[8:9], v[52:53], v[0:1]
	s_mov_b32 s0, 0x13813814
	v_mul_f64 v[0:1], v[54:55], v[0:1]
	s_mov_b32 s1, 0x3f538138
	v_fma_f64 v[0:1], v[52:53], v[2:3], -v[0:1]
	v_mad_u64_u32 v[16:17], s[2:3], s8, v22, 0
	v_mul_f64 v[10:11], v[0:1], s[0:1]
	v_mov_b32_e32 v0, v17
	v_mad_u64_u32 v[0:1], s[2:3], s9, v22, v[0:1]
	v_mov_b32_e32 v17, v0
	ds_read_b128 v[0:3], v20 offset:6720
	v_mov_b32_e32 v12, s12
	v_mov_b32_e32 v13, s13
	v_lshl_add_u64 v[12:13], v[14:15], 4, v[12:13]
	v_accvgpr_read_b32 v25, a5
	v_mul_f64 v[8:9], v[8:9], s[0:1]
	v_lshl_add_u64 v[16:17], v[16:17], 4, v[12:13]
	v_accvgpr_read_b32 v24, a4
	global_store_dwordx4 v[16:17], v[8:11], off
	ds_read_b128 v[8:11], v20 offset:5376
	v_accvgpr_read_b32 v23, a3
	v_accvgpr_read_b32 v22, a2
	s_waitcnt lgkmcnt(1)
	v_mul_f64 v[12:13], v[24:25], v[2:3]
	s_mul_i32 s2, s9, 0x1a4
	s_mul_hi_u32 s3, s8, 0x1a4
	v_fmac_f64_e32 v[12:13], v[22:23], v[0:1]
	v_mul_f64 v[0:1], v[24:25], v[0:1]
	s_add_i32 s3, s3, s2
	s_mul_i32 s2, s8, 0x1a4
	v_fma_f64 v[0:1], v[22:23], v[2:3], -v[0:1]
	s_lshl_b64 s[10:11], s[2:3], 4
	v_mul_f64 v[12:13], v[12:13], s[0:1]
	v_mul_f64 v[14:15], v[0:1], s[0:1]
	v_lshl_add_u64 v[16:17], v[16:17], 0, s[10:11]
	global_store_dwordx4 v[16:17], v[12:15], off
	s_mul_hi_u32 s7, s8, 0xfffffe94
	s_mul_i32 s6, s9, 0xfffffe94
	v_accvgpr_read_b32 v15, a9
	v_accvgpr_read_b32 v14, a8
	;; [unrolled: 1-line block ×4, first 2 shown]
	v_mul_f64 v[0:1], v[14:15], v[6:7]
	v_mul_f64 v[2:3], v[14:15], v[4:5]
	v_fmac_f64_e32 v[0:1], v[12:13], v[4:5]
	v_fma_f64 v[2:3], v[12:13], v[6:7], -v[2:3]
	ds_read_b128 v[4:7], v20 offset:7616
	s_sub_i32 s7, s7, s8
	s_add_i32 s7, s7, s6
	s_mul_i32 s6, s8, 0xfffffe94
	s_lshl_b64 s[8:9], s[6:7], 4
	v_accvgpr_read_b32 v25, a13
	v_mul_f64 v[0:1], v[0:1], s[0:1]
	v_mul_f64 v[2:3], v[2:3], s[0:1]
	v_lshl_add_u64 v[16:17], v[16:17], 0, s[8:9]
	v_accvgpr_read_b32 v24, a12
	global_store_dwordx4 v[16:17], v[0:3], off
	ds_read_b128 v[0:3], v20 offset:8512
	v_accvgpr_read_b32 v23, a11
	v_accvgpr_read_b32 v22, a10
	s_waitcnt lgkmcnt(1)
	v_mul_f64 v[12:13], v[24:25], v[6:7]
	v_fmac_f64_e32 v[12:13], v[22:23], v[4:5]
	v_mul_f64 v[4:5], v[24:25], v[4:5]
	v_fma_f64 v[14:15], v[22:23], v[6:7], -v[4:5]
	ds_read_b128 v[4:7], v20 offset:1792
	v_accvgpr_read_b32 v27, a17
	v_mul_f64 v[12:13], v[12:13], s[0:1]
	v_mul_f64 v[14:15], v[14:15], s[0:1]
	v_lshl_add_u64 v[22:23], v[16:17], 0, s[10:11]
	v_accvgpr_read_b32 v26, a16
	global_store_dwordx4 v[22:23], v[12:15], off
	ds_read_b128 v[12:15], v20 offset:2688
	v_accvgpr_read_b32 v25, a15
	v_accvgpr_read_b32 v24, a14
	s_waitcnt lgkmcnt(1)
	v_mul_f64 v[16:17], v[26:27], v[6:7]
	v_fmac_f64_e32 v[16:17], v[24:25], v[4:5]
	v_mul_f64 v[4:5], v[26:27], v[4:5]
	v_fma_f64 v[4:5], v[24:25], v[6:7], -v[4:5]
	v_mul_f64 v[16:17], v[16:17], s[0:1]
	v_mul_f64 v[18:19], v[4:5], s[0:1]
	v_lshl_add_u64 v[22:23], v[22:23], 0, s[8:9]
	global_store_dwordx4 v[22:23], v[16:19], off
	s_nop 1
	v_accvgpr_read_b32 v16, a18
	v_accvgpr_read_b32 v18, a20
	;; [unrolled: 1-line block ×4, first 2 shown]
	v_mul_f64 v[4:5], v[18:19], v[2:3]
	v_fmac_f64_e32 v[4:5], v[16:17], v[0:1]
	v_mul_f64 v[0:1], v[18:19], v[0:1]
	v_fma_f64 v[0:1], v[16:17], v[2:3], -v[0:1]
	v_mul_f64 v[4:5], v[4:5], s[0:1]
	v_mul_f64 v[6:7], v[0:1], s[0:1]
	v_lshl_add_u64 v[16:17], v[22:23], 0, s[10:11]
	global_store_dwordx4 v[16:17], v[4:7], off
	v_accvgpr_read_b32 v22, a26
	v_lshl_add_u64 v[16:17], v[16:17], 0, s[8:9]
	v_accvgpr_read_b32 v4, a22
	v_accvgpr_read_b32 v6, a24
	;; [unrolled: 1-line block ×4, first 2 shown]
	s_waitcnt lgkmcnt(0)
	v_mul_f64 v[0:1], v[6:7], v[14:15]
	v_mul_f64 v[2:3], v[6:7], v[12:13]
	v_fmac_f64_e32 v[0:1], v[4:5], v[12:13]
	v_fma_f64 v[2:3], v[4:5], v[14:15], -v[2:3]
	ds_read_b128 v[4:7], v20 offset:9408
	v_mul_f64 v[0:1], v[0:1], s[0:1]
	v_mul_f64 v[2:3], v[2:3], s[0:1]
	v_accvgpr_read_b32 v24, a28
	v_accvgpr_read_b32 v25, a29
	global_store_dwordx4 v[16:17], v[0:3], off
	ds_read_b128 v[0:3], v20 offset:10304
	v_accvgpr_read_b32 v23, a27
	s_waitcnt lgkmcnt(1)
	v_mul_f64 v[12:13], v[24:25], v[6:7]
	v_fmac_f64_e32 v[12:13], v[22:23], v[4:5]
	v_mul_f64 v[4:5], v[24:25], v[4:5]
	v_fma_f64 v[14:15], v[22:23], v[6:7], -v[4:5]
	ds_read_b128 v[4:7], v20 offset:3584
	v_accvgpr_read_b32 v24, a30
	v_mul_f64 v[12:13], v[12:13], s[0:1]
	v_mul_f64 v[14:15], v[14:15], s[0:1]
	v_lshl_add_u64 v[22:23], v[16:17], 0, s[10:11]
	v_accvgpr_read_b32 v26, a32
	v_accvgpr_read_b32 v27, a33
	global_store_dwordx4 v[22:23], v[12:15], off
	ds_read_b128 v[12:15], v20 offset:4480
	v_accvgpr_read_b32 v25, a31
	s_waitcnt lgkmcnt(1)
	v_mul_f64 v[16:17], v[26:27], v[6:7]
	v_fmac_f64_e32 v[16:17], v[24:25], v[4:5]
	v_mul_f64 v[4:5], v[26:27], v[4:5]
	v_fma_f64 v[4:5], v[24:25], v[6:7], -v[4:5]
	v_mul_f64 v[16:17], v[16:17], s[0:1]
	v_mul_f64 v[18:19], v[4:5], s[0:1]
	v_lshl_add_u64 v[22:23], v[22:23], 0, s[8:9]
	global_store_dwordx4 v[22:23], v[16:19], off
	s_nop 1
	v_accvgpr_read_b32 v16, a34
	v_accvgpr_read_b32 v18, a36
	;; [unrolled: 1-line block ×4, first 2 shown]
	v_mul_f64 v[4:5], v[18:19], v[2:3]
	v_fmac_f64_e32 v[4:5], v[16:17], v[0:1]
	v_mul_f64 v[0:1], v[18:19], v[0:1]
	v_fma_f64 v[0:1], v[16:17], v[2:3], -v[0:1]
	v_mul_f64 v[4:5], v[4:5], s[0:1]
	v_mul_f64 v[6:7], v[0:1], s[0:1]
	v_lshl_add_u64 v[16:17], v[22:23], 0, s[10:11]
	global_store_dwordx4 v[16:17], v[4:7], off
	v_accvgpr_read_b32 v22, a38
	v_lshl_add_u64 v[16:17], v[16:17], 0, s[8:9]
	v_accvgpr_read_b32 v4, a42
	v_accvgpr_read_b32 v6, a44
	;; [unrolled: 1-line block ×4, first 2 shown]
	s_waitcnt lgkmcnt(0)
	v_mul_f64 v[0:1], v[6:7], v[14:15]
	v_mul_f64 v[2:3], v[6:7], v[12:13]
	v_fmac_f64_e32 v[0:1], v[4:5], v[12:13]
	v_fma_f64 v[2:3], v[4:5], v[14:15], -v[2:3]
	ds_read_b128 v[4:7], v20 offset:11200
	v_mul_f64 v[0:1], v[0:1], s[0:1]
	v_mul_f64 v[2:3], v[2:3], s[0:1]
	v_accvgpr_read_b32 v24, a40
	v_accvgpr_read_b32 v25, a41
	global_store_dwordx4 v[16:17], v[0:3], off
	ds_read_b128 v[0:3], v20 offset:12096
	v_accvgpr_read_b32 v23, a39
	s_waitcnt lgkmcnt(1)
	v_mul_f64 v[12:13], v[24:25], v[6:7]
	v_fmac_f64_e32 v[12:13], v[22:23], v[4:5]
	v_mul_f64 v[4:5], v[24:25], v[4:5]
	v_fma_f64 v[4:5], v[22:23], v[6:7], -v[4:5]
	v_mul_f64 v[12:13], v[12:13], s[0:1]
	v_mul_f64 v[14:15], v[4:5], s[0:1]
	v_lshl_add_u64 v[16:17], v[16:17], 0, s[10:11]
	global_store_dwordx4 v[16:17], v[12:15], off
	s_nop 1
	v_accvgpr_read_b32 v12, a46
	v_accvgpr_read_b32 v14, a48
	;; [unrolled: 1-line block ×4, first 2 shown]
	v_mul_f64 v[4:5], v[14:15], v[10:11]
	v_mul_f64 v[6:7], v[14:15], v[8:9]
	v_fmac_f64_e32 v[4:5], v[12:13], v[8:9]
	v_fma_f64 v[6:7], v[12:13], v[10:11], -v[6:7]
	v_accvgpr_read_b32 v10, a50
	v_mul_f64 v[4:5], v[4:5], s[0:1]
	v_mul_f64 v[6:7], v[6:7], s[0:1]
	v_lshl_add_u64 v[8:9], v[16:17], 0, s[8:9]
	v_accvgpr_read_b32 v12, a52
	v_accvgpr_read_b32 v13, a53
	global_store_dwordx4 v[8:9], v[4:7], off
	v_accvgpr_read_b32 v11, a51
	s_waitcnt lgkmcnt(0)
	v_mul_f64 v[4:5], v[12:13], v[2:3]
	v_fmac_f64_e32 v[4:5], v[10:11], v[0:1]
	v_mul_f64 v[0:1], v[12:13], v[0:1]
	v_fma_f64 v[0:1], v[10:11], v[2:3], -v[0:1]
	v_mul_f64 v[4:5], v[4:5], s[0:1]
	v_mul_f64 v[6:7], v[0:1], s[0:1]
	v_lshl_add_u64 v[0:1], v[8:9], 0, s[10:11]
	global_store_dwordx4 v[0:1], v[4:7], off
	s_and_b64 exec, exec, s[4:5]
	s_cbranch_execz .LBB0_39
; %bb.38:
	v_accvgpr_read_b32 v17, a1
	v_accvgpr_read_b32 v16, a0
	v_add_co_u32_e32 v2, vcc, 0x1000, v16
	v_lshl_add_u64 v[14:15], s[6:7], 4, v[0:1]
	s_nop 0
	v_addc_co_u32_e32 v3, vcc, 0, v17, vcc
	global_load_dwordx4 v[2:5], v[2:3], off offset:2176
	ds_read_b128 v[6:9], v20 offset:6272
	ds_read_b128 v[10:13], v20 offset:12992
	s_movk_i32 s4, 0x3000
	v_add_co_u32_e32 v16, vcc, s4, v16
	s_waitcnt vmcnt(0) lgkmcnt(1)
	v_mul_f64 v[0:1], v[8:9], v[4:5]
	v_mul_f64 v[4:5], v[6:7], v[4:5]
	v_fmac_f64_e32 v[0:1], v[6:7], v[2:3]
	v_fma_f64 v[2:3], v[2:3], v[8:9], -v[4:5]
	v_mul_f64 v[0:1], v[0:1], s[0:1]
	v_mul_f64 v[2:3], v[2:3], s[0:1]
	v_addc_co_u32_e32 v17, vcc, 0, v17, vcc
	global_store_dwordx4 v[14:15], v[0:3], off
	global_load_dwordx4 v[0:3], v[16:17], off offset:704
	s_waitcnt vmcnt(0) lgkmcnt(0)
	v_mul_f64 v[4:5], v[12:13], v[2:3]
	v_mul_f64 v[2:3], v[10:11], v[2:3]
	v_fmac_f64_e32 v[4:5], v[10:11], v[0:1]
	v_fma_f64 v[2:3], v[0:1], v[12:13], -v[2:3]
	v_mul_f64 v[0:1], v[4:5], s[0:1]
	v_mul_f64 v[2:3], v[2:3], s[0:1]
	v_lshl_add_u64 v[4:5], s[2:3], 4, v[14:15]
	global_store_dwordx4 v[4:5], v[0:3], off
.LBB0_39:
	s_endpgm
	.section	.rodata,"a",@progbits
	.p2align	6, 0x0
	.amdhsa_kernel bluestein_single_back_len840_dim1_dp_op_CI_CI
		.amdhsa_group_segment_fixed_size 13440
		.amdhsa_private_segment_fixed_size 0
		.amdhsa_kernarg_size 104
		.amdhsa_user_sgpr_count 2
		.amdhsa_user_sgpr_dispatch_ptr 0
		.amdhsa_user_sgpr_queue_ptr 0
		.amdhsa_user_sgpr_kernarg_segment_ptr 1
		.amdhsa_user_sgpr_dispatch_id 0
		.amdhsa_user_sgpr_kernarg_preload_length 0
		.amdhsa_user_sgpr_kernarg_preload_offset 0
		.amdhsa_user_sgpr_private_segment_size 0
		.amdhsa_uses_dynamic_stack 0
		.amdhsa_enable_private_segment 0
		.amdhsa_system_sgpr_workgroup_id_x 1
		.amdhsa_system_sgpr_workgroup_id_y 0
		.amdhsa_system_sgpr_workgroup_id_z 0
		.amdhsa_system_sgpr_workgroup_info 0
		.amdhsa_system_vgpr_workitem_id 0
		.amdhsa_next_free_vgpr 340
		.amdhsa_next_free_sgpr 32
		.amdhsa_accum_offset 256
		.amdhsa_reserve_vcc 1
		.amdhsa_float_round_mode_32 0
		.amdhsa_float_round_mode_16_64 0
		.amdhsa_float_denorm_mode_32 3
		.amdhsa_float_denorm_mode_16_64 3
		.amdhsa_dx10_clamp 1
		.amdhsa_ieee_mode 1
		.amdhsa_fp16_overflow 0
		.amdhsa_tg_split 0
		.amdhsa_exception_fp_ieee_invalid_op 0
		.amdhsa_exception_fp_denorm_src 0
		.amdhsa_exception_fp_ieee_div_zero 0
		.amdhsa_exception_fp_ieee_overflow 0
		.amdhsa_exception_fp_ieee_underflow 0
		.amdhsa_exception_fp_ieee_inexact 0
		.amdhsa_exception_int_div_zero 0
	.end_amdhsa_kernel
	.text
.Lfunc_end0:
	.size	bluestein_single_back_len840_dim1_dp_op_CI_CI, .Lfunc_end0-bluestein_single_back_len840_dim1_dp_op_CI_CI
                                        ; -- End function
	.section	.AMDGPU.csdata,"",@progbits
; Kernel info:
; codeLenInByte = 21824
; NumSgprs: 38
; NumVgprs: 256
; NumAgprs: 84
; TotalNumVgprs: 340
; ScratchSize: 0
; MemoryBound: 0
; FloatMode: 240
; IeeeMode: 1
; LDSByteSize: 13440 bytes/workgroup (compile time only)
; SGPRBlocks: 4
; VGPRBlocks: 42
; NumSGPRsForWavesPerEU: 38
; NumVGPRsForWavesPerEU: 340
; AccumOffset: 256
; Occupancy: 1
; WaveLimiterHint : 1
; COMPUTE_PGM_RSRC2:SCRATCH_EN: 0
; COMPUTE_PGM_RSRC2:USER_SGPR: 2
; COMPUTE_PGM_RSRC2:TRAP_HANDLER: 0
; COMPUTE_PGM_RSRC2:TGID_X_EN: 1
; COMPUTE_PGM_RSRC2:TGID_Y_EN: 0
; COMPUTE_PGM_RSRC2:TGID_Z_EN: 0
; COMPUTE_PGM_RSRC2:TIDIG_COMP_CNT: 0
; COMPUTE_PGM_RSRC3_GFX90A:ACCUM_OFFSET: 63
; COMPUTE_PGM_RSRC3_GFX90A:TG_SPLIT: 0
	.text
	.p2alignl 6, 3212836864
	.fill 256, 4, 3212836864
	.type	__hip_cuid_91761617529089d8,@object ; @__hip_cuid_91761617529089d8
	.section	.bss,"aw",@nobits
	.globl	__hip_cuid_91761617529089d8
__hip_cuid_91761617529089d8:
	.byte	0                               ; 0x0
	.size	__hip_cuid_91761617529089d8, 1

	.ident	"AMD clang version 19.0.0git (https://github.com/RadeonOpenCompute/llvm-project roc-6.4.0 25133 c7fe45cf4b819c5991fe208aaa96edf142730f1d)"
	.section	".note.GNU-stack","",@progbits
	.addrsig
	.addrsig_sym __hip_cuid_91761617529089d8
	.amdgpu_metadata
---
amdhsa.kernels:
  - .agpr_count:     84
    .args:
      - .actual_access:  read_only
        .address_space:  global
        .offset:         0
        .size:           8
        .value_kind:     global_buffer
      - .actual_access:  read_only
        .address_space:  global
        .offset:         8
        .size:           8
        .value_kind:     global_buffer
      - .actual_access:  read_only
        .address_space:  global
        .offset:         16
        .size:           8
        .value_kind:     global_buffer
      - .actual_access:  read_only
        .address_space:  global
        .offset:         24
        .size:           8
        .value_kind:     global_buffer
      - .actual_access:  read_only
        .address_space:  global
        .offset:         32
        .size:           8
        .value_kind:     global_buffer
      - .offset:         40
        .size:           8
        .value_kind:     by_value
      - .address_space:  global
        .offset:         48
        .size:           8
        .value_kind:     global_buffer
      - .address_space:  global
        .offset:         56
        .size:           8
        .value_kind:     global_buffer
      - .address_space:  global
        .offset:         64
        .size:           8
        .value_kind:     global_buffer
      - .address_space:  global
        .offset:         72
        .size:           8
        .value_kind:     global_buffer
      - .offset:         80
        .size:           4
        .value_kind:     by_value
      - .address_space:  global
        .offset:         88
        .size:           8
        .value_kind:     global_buffer
      - .address_space:  global
        .offset:         96
        .size:           8
        .value_kind:     global_buffer
    .group_segment_fixed_size: 13440
    .kernarg_segment_align: 8
    .kernarg_segment_size: 104
    .language:       OpenCL C
    .language_version:
      - 2
      - 0
    .max_flat_workgroup_size: 56
    .name:           bluestein_single_back_len840_dim1_dp_op_CI_CI
    .private_segment_fixed_size: 0
    .sgpr_count:     38
    .sgpr_spill_count: 0
    .symbol:         bluestein_single_back_len840_dim1_dp_op_CI_CI.kd
    .uniform_work_group_size: 1
    .uses_dynamic_stack: false
    .vgpr_count:     340
    .vgpr_spill_count: 0
    .wavefront_size: 64
amdhsa.target:   amdgcn-amd-amdhsa--gfx950
amdhsa.version:
  - 1
  - 2
...

	.end_amdgpu_metadata
